;; amdgpu-corpus repo=ROCm/rocFFT kind=compiled arch=gfx1030 opt=O3
	.text
	.amdgcn_target "amdgcn-amd-amdhsa--gfx1030"
	.amdhsa_code_object_version 6
	.protected	bluestein_single_back_len1530_dim1_sp_op_CI_CI ; -- Begin function bluestein_single_back_len1530_dim1_sp_op_CI_CI
	.globl	bluestein_single_back_len1530_dim1_sp_op_CI_CI
	.p2align	8
	.type	bluestein_single_back_len1530_dim1_sp_op_CI_CI,@function
bluestein_single_back_len1530_dim1_sp_op_CI_CI: ; @bluestein_single_back_len1530_dim1_sp_op_CI_CI
; %bb.0:
	s_load_dwordx4 s[0:3], s[4:5], 0x28
	v_mul_u32_u24_e32 v1, 0x283, v0
	v_mov_b32_e32 v109, 0
	v_lshrrev_b32_e32 v1, 16, v1
	v_add_nc_u32_e32 v108, s6, v1
	s_waitcnt lgkmcnt(0)
	v_cmp_gt_u64_e32 vcc_lo, s[0:1], v[108:109]
	s_and_saveexec_b32 s0, vcc_lo
	s_cbranch_execz .LBB0_23
; %bb.1:
	s_clause 0x1
	s_load_dwordx2 s[12:13], s[4:5], 0x0
	s_load_dwordx2 s[14:15], s[4:5], 0x38
	v_mul_lo_u16 v1, 0x66, v1
	v_sub_nc_u16 v0, v0, v1
	v_and_b32_e32 v118, 0xffff, v0
	v_cmp_gt_u16_e32 vcc_lo, 0x5a, v0
	v_lshlrev_b32_e32 v117, 3, v118
	s_and_saveexec_b32 s1, vcc_lo
	s_cbranch_execz .LBB0_3
; %bb.2:
	s_load_dwordx2 s[6:7], s[4:5], 0x18
	s_waitcnt lgkmcnt(0)
	v_add_co_u32 v20, s0, s12, v117
	v_add_co_ci_u32_e64 v21, null, s13, 0, s0
	v_add_nc_u32_e32 v70, 0x400, v117
	v_add_co_u32 v10, s0, 0x800, v20
	v_add_co_ci_u32_e64 v11, s0, 0, v21, s0
	v_add_co_u32 v12, s0, 0x1000, v20
	v_add_co_ci_u32_e64 v13, s0, 0, v21, s0
	v_add_nc_u32_e32 v71, 0x800, v117
	v_add_nc_u32_e32 v72, 0x1000, v117
	;; [unrolled: 1-line block ×6, first 2 shown]
	s_load_dwordx4 s[8:11], s[6:7], 0x0
	s_clause 0x2
	global_load_dwordx2 v[2:3], v117, s[12:13]
	global_load_dwordx2 v[4:5], v117, s[12:13] offset:720
	global_load_dwordx2 v[6:7], v117, s[12:13] offset:1440
	s_waitcnt lgkmcnt(0)
	v_mad_u64_u32 v[0:1], null, s10, v108, 0
	v_mad_u64_u32 v[8:9], null, s8, v118, 0
	s_mul_i32 s6, s9, 0x2d0
	s_mul_hi_u32 s7, s8, 0x2d0
	s_add_i32 s7, s7, s6
	v_mad_u64_u32 v[17:18], null, s9, v118, v[9:10]
	s_clause 0x5
	global_load_dwordx2 v[22:23], v[10:11], off offset:112
	global_load_dwordx2 v[24:25], v[10:11], off offset:832
	;; [unrolled: 1-line block ×6, first 2 shown]
	v_mov_b32_e32 v9, v17
	v_lshlrev_b64 v[8:9], 3, v[8:9]
	s_waitcnt vmcnt(8)
	v_mad_u64_u32 v[14:15], null, s11, v108, v[1:2]
	v_add_co_u32 v15, s0, 0x1800, v20
	v_add_co_ci_u32_e64 v16, s0, 0, v21, s0
	v_add_co_u32 v18, s0, 0x2000, v20
	v_mov_b32_e32 v1, v14
	v_add_co_ci_u32_e64 v19, s0, 0, v21, s0
	v_add_co_u32 v20, s0, 0x2800, v20
	v_lshlrev_b64 v[0:1], 3, v[0:1]
	v_add_co_ci_u32_e64 v21, s0, 0, v21, s0
	s_clause 0x5
	global_load_dwordx2 v[32:33], v[15:16], off offset:336
	global_load_dwordx2 v[34:35], v[15:16], off offset:1056
	;; [unrolled: 1-line block ×6, first 2 shown]
	v_add_co_u32 v0, s0, s2, v0
	v_add_co_ci_u32_e64 v1, s0, s3, v1, s0
	s_mul_i32 s2, s8, 0x2d0
	v_add_co_u32 v0, s0, v0, v8
	v_add_co_ci_u32_e64 v1, s0, v1, v9, s0
	v_add_co_u32 v8, s0, v0, s2
	v_add_co_ci_u32_e64 v9, s0, s7, v1, s0
	;; [unrolled: 2-line block ×5, first 2 shown]
	s_clause 0x3
	global_load_dwordx2 v[0:1], v[0:1], off
	global_load_dwordx2 v[8:9], v[8:9], off
	;; [unrolled: 1-line block ×4, first 2 shown]
	v_add_co_u32 v42, s0, v40, s2
	v_add_co_ci_u32_e64 v43, s0, s7, v41, s0
	global_load_dwordx2 v[40:41], v[40:41], off
	v_add_co_u32 v44, s0, v42, s2
	v_add_co_ci_u32_e64 v45, s0, s7, v43, s0
	global_load_dwordx2 v[42:43], v[42:43], off
	;; [unrolled: 3-line block ×12, first 2 shown]
	s_clause 0x1
	global_load_dwordx2 v[66:67], v[20:21], off offset:560
	global_load_dwordx2 v[20:21], v[20:21], off offset:1280
	global_load_dwordx2 v[64:65], v[64:65], off
	s_waitcnt vmcnt(18)
	v_mul_f32_e32 v68, v1, v3
	v_mul_f32_e32 v69, v0, v3
	s_waitcnt vmcnt(17)
	v_mul_f32_e32 v3, v9, v5
	v_fmac_f32_e32 v68, v0, v2
	v_fma_f32 v69, v1, v2, -v69
	v_mul_f32_e32 v1, v8, v5
	s_waitcnt vmcnt(16)
	v_mul_f32_e32 v0, v31, v7
	v_mul_f32_e32 v2, v30, v7
	s_waitcnt vmcnt(15)
	v_mul_f32_e32 v5, v17, v23
	v_mul_f32_e32 v7, v16, v23
	v_fmac_f32_e32 v3, v8, v4
	v_fma_f32 v4, v9, v4, -v1
	v_fmac_f32_e32 v0, v30, v6
	v_fma_f32 v1, v31, v6, -v2
	;; [unrolled: 2-line block ×3, first 2 shown]
	s_waitcnt vmcnt(14)
	v_mul_f32_e32 v7, v40, v25
	v_mul_f32_e32 v2, v41, v25
	ds_write2_b64 v117, v[68:69], v[3:4] offset1:90
	s_waitcnt vmcnt(13)
	v_mul_f32_e32 v4, v43, v11
	ds_write2_b64 v70, v[0:1], v[5:6] offset0:52 offset1:142
	v_fma_f32 v3, v41, v24, -v7
	v_mul_f32_e32 v1, v42, v11
	s_waitcnt vmcnt(12)
	v_mul_f32_e32 v0, v45, v27
	v_mul_f32_e32 v7, v44, v27
	s_waitcnt vmcnt(11)
	v_mul_f32_e32 v6, v47, v29
	v_mul_f32_e32 v8, v46, v29
	v_fmac_f32_e32 v2, v40, v24
	v_fmac_f32_e32 v4, v42, v10
	v_fma_f32 v5, v43, v10, -v1
	v_fmac_f32_e32 v0, v44, v26
	v_fma_f32 v1, v45, v26, -v7
	;; [unrolled: 2-line block ×3, first 2 shown]
	ds_write2_b64 v71, v[2:3], v[4:5] offset0:104 offset1:194
	s_waitcnt vmcnt(10)
	v_mul_f32_e32 v8, v49, v13
	s_waitcnt vmcnt(8)
	v_mul_f32_e32 v5, v52, v35
	v_mul_f32_e32 v9, v48, v13
	ds_write2_b64 v72, v[0:1], v[6:7] offset0:28 offset1:118
	v_mul_f32_e32 v1, v50, v33
	v_mul_f32_e32 v2, v51, v33
	s_waitcnt vmcnt(7)
	v_mul_f32_e32 v7, v54, v15
	v_mul_f32_e32 v4, v55, v15
	;; [unrolled: 1-line block ×3, first 2 shown]
	v_fma_f32 v3, v51, v32, -v1
	v_fma_f32 v1, v53, v34, -v5
	s_waitcnt vmcnt(6)
	v_mul_f32_e32 v6, v57, v37
	v_fma_f32 v5, v55, v14, -v7
	v_mul_f32_e32 v7, v56, v37
	v_fmac_f32_e32 v8, v48, v12
	v_fma_f32 v9, v49, v12, -v9
	s_waitcnt vmcnt(5)
	v_mul_f32_e32 v10, v59, v39
	v_mul_f32_e32 v11, v58, v39
	v_fmac_f32_e32 v4, v54, v14
	v_fmac_f32_e32 v2, v50, v32
	;; [unrolled: 1-line block ×3, first 2 shown]
	s_waitcnt vmcnt(4)
	v_mul_f32_e32 v12, v61, v19
	v_mul_f32_e32 v13, v60, v19
	v_fmac_f32_e32 v6, v56, v36
	s_waitcnt vmcnt(2)
	v_mul_f32_e32 v14, v63, v67
	v_mul_f32_e32 v15, v62, v67
	s_waitcnt vmcnt(0)
	v_mul_f32_e32 v16, v65, v21
	v_mul_f32_e32 v17, v64, v21
	v_fma_f32 v7, v57, v36, -v7
	v_fmac_f32_e32 v10, v58, v38
	v_fma_f32 v11, v59, v38, -v11
	v_fmac_f32_e32 v12, v60, v18
	v_fma_f32 v13, v61, v18, -v13
	v_fmac_f32_e32 v14, v62, v66
	v_fma_f32 v15, v63, v66, -v15
	v_fmac_f32_e32 v16, v64, v20
	v_fma_f32 v17, v65, v20, -v17
	ds_write2_b64 v73, v[8:9], v[2:3] offset0:80 offset1:170
	ds_write2_b64 v74, v[0:1], v[4:5] offset0:132 offset1:222
	;; [unrolled: 1-line block ×4, first 2 shown]
	ds_write_b64 v117, v[16:17] offset:11520
.LBB0_3:
	s_or_b32 exec_lo, exec_lo, s1
	s_clause 0x1
	s_load_dwordx2 s[0:1], s[4:5], 0x20
	s_load_dwordx2 s[2:3], s[4:5], 0x8
	v_mov_b32_e32 v0, 0
	v_mov_b32_e32 v1, 0
	s_waitcnt lgkmcnt(0)
	s_barrier
	buffer_gl0_inv
                                        ; implicit-def: $vgpr18
                                        ; implicit-def: $vgpr12
                                        ; implicit-def: $vgpr8
                                        ; implicit-def: $vgpr4
                                        ; implicit-def: $vgpr32
                                        ; implicit-def: $vgpr30
                                        ; implicit-def: $vgpr22
                                        ; implicit-def: $vgpr26
                                        ; kill: def $vgpr2 killed $sgpr0 killed $exec
	s_and_saveexec_b32 s4, vcc_lo
	s_cbranch_execz .LBB0_5
; %bb.4:
	v_add_nc_u32_e32 v4, 0x400, v117
	v_add_nc_u32_e32 v5, 0x800, v117
	v_add_nc_u32_e32 v6, 0x1000, v117
	ds_read2_b64 v[0:3], v117 offset1:90
	v_add_nc_u32_e32 v7, 0x2000, v117
	ds_read2_b64 v[24:27], v4 offset0:52 offset1:142
	ds_read2_b64 v[20:23], v5 offset0:104 offset1:194
	v_add_nc_u32_e32 v4, 0x1400, v117
	v_add_nc_u32_e32 v5, 0x1800, v117
	;; [unrolled: 1-line block ×3, first 2 shown]
	ds_read2_b64 v[28:31], v6 offset0:28 offset1:118
	ds_read2_b64 v[16:19], v4 offset0:80 offset1:170
	;; [unrolled: 1-line block ×5, first 2 shown]
	ds_read_b64 v[32:33], v117 offset:11520
.LBB0_5:
	s_or_b32 exec_lo, exec_lo, s4
	s_waitcnt lgkmcnt(0)
	v_sub_f32_e32 v69, v3, v33
	v_sub_f32_e32 v72, v2, v32
	v_add_f32_e32 v34, v32, v2
	v_add_f32_e32 v37, v33, v3
	v_sub_f32_e32 v70, v25, v7
	v_mul_f32_e32 v52, 0xbeb8f4ab, v69
	v_mul_f32_e32 v54, 0xbeb8f4ab, v72
	v_add_f32_e32 v35, v6, v24
	v_sub_f32_e32 v71, v24, v6
	v_mul_f32_e32 v53, 0xbf2c7751, v70
	v_fmamk_f32 v38, v34, 0x3f6eb680, v52
	v_fma_f32 v39, 0x3f6eb680, v37, -v54
	v_add_f32_e32 v36, v7, v25
	v_mul_f32_e32 v56, 0xbf2c7751, v71
	v_sub_f32_e32 v73, v27, v5
	v_add_f32_e32 v40, v38, v0
	v_add_f32_e32 v41, v39, v1
	v_fmamk_f32 v39, v35, 0x3f3d2fb0, v53
	v_sub_f32_e32 v74, v26, v4
	v_fma_f32 v42, 0x3f3d2fb0, v36, -v56
	v_add_f32_e32 v38, v4, v26
	v_mul_f32_e32 v55, 0xbf65296c, v73
	v_add_f32_e32 v43, v39, v40
	v_add_f32_e32 v39, v5, v27
	v_mul_f32_e32 v57, 0xbf65296c, v74
	v_sub_f32_e32 v75, v21, v11
	v_add_f32_e32 v42, v42, v41
	v_fmamk_f32 v44, v38, 0x3ee437d1, v55
	v_sub_f32_e32 v76, v20, v10
	v_fma_f32 v45, 0x3ee437d1, v39, -v57
	v_add_f32_e32 v40, v10, v20
	v_mul_f32_e32 v58, 0xbf7ee86f, v75
	v_mul_f32_e32 v67, 0xbf2c7751, v69
	v_add_f32_e32 v41, v11, v21
	v_mul_f32_e32 v61, 0xbf7ee86f, v76
	v_add_f32_e32 v43, v44, v43
	v_add_f32_e32 v44, v45, v42
	v_sub_f32_e32 v77, v23, v9
	v_fmamk_f32 v45, v40, 0x3dbcf732, v58
	v_sub_f32_e32 v78, v22, v8
	v_mul_f32_e32 v87, 0xbf2c7751, v72
	v_fma_f32 v46, 0x3dbcf732, v41, -v61
	v_add_f32_e32 v42, v8, v22
	v_mul_f32_e32 v60, 0xbf763a35, v77
	v_add_f32_e32 v45, v45, v43
	v_add_f32_e32 v43, v9, v23
	v_mul_f32_e32 v63, 0xbf763a35, v78
	v_sub_f32_e32 v79, v29, v15
	v_fmamk_f32 v66, v34, 0x3f3d2fb0, v67
	v_mul_f32_e32 v84, 0xbf7ee86f, v70
	v_fma_f32 v68, 0x3f3d2fb0, v37, -v87
	v_mul_f32_e32 v92, 0xbf7ee86f, v71
	v_add_f32_e32 v44, v46, v44
	v_fmamk_f32 v48, v42, 0xbe8c1d8e, v60
	v_sub_f32_e32 v83, v28, v14
	v_fma_f32 v49, 0xbe8c1d8e, v43, -v63
	v_add_f32_e32 v46, v14, v28
	v_mul_f32_e32 v62, 0xbf4c4adb, v79
	v_sub_f32_e32 v85, v31, v13
	v_add_f32_e32 v82, v66, v0
	v_fmamk_f32 v86, v35, 0x3dbcf732, v84
	v_add_f32_e32 v68, v68, v1
	v_fma_f32 v89, 0x3dbcf732, v36, -v92
	v_mul_f32_e32 v88, 0xbf4c4adb, v73
	v_mul_f32_e32 v95, 0xbf4c4adb, v74
	v_add_f32_e32 v47, v15, v29
	v_mul_f32_e32 v64, 0xbf4c4adb, v83
	v_add_f32_e32 v45, v48, v45
	v_add_f32_e32 v44, v49, v44
	v_fmamk_f32 v49, v46, 0xbf1a4643, v62
	v_sub_f32_e32 v94, v30, v12
	v_add_f32_e32 v48, v12, v30
	v_mul_f32_e32 v59, 0xbf06c442, v85
	v_add_f32_e32 v82, v86, v82
	v_add_f32_e32 v86, v89, v68
	v_fmamk_f32 v91, v38, 0xbf1a4643, v88
	v_fma_f32 v93, 0xbf1a4643, v39, -v95
	v_mul_f32_e32 v89, 0xbe3c28d5, v75
	v_mul_f32_e32 v96, 0xbe3c28d5, v76
	v_fma_f32 v50, 0xbf1a4643, v47, -v64
	v_add_f32_e32 v45, v49, v45
	v_add_f32_e32 v49, v13, v31
	v_mul_f32_e32 v65, 0xbf06c442, v94
	v_fmamk_f32 v80, v48, 0xbf59a7d5, v59
	v_add_f32_e32 v82, v91, v82
	v_add_f32_e32 v86, v93, v86
	v_fmamk_f32 v93, v40, 0xbf7ba420, v89
	v_fma_f32 v97, 0xbf7ba420, v41, -v96
	v_mul_f32_e32 v91, 0x3f06c442, v77
	v_mul_f32_e32 v98, 0x3f06c442, v78
	v_add_f32_e32 v44, v50, v44
	v_fma_f32 v81, 0xbf59a7d5, v49, -v65
	v_add_f32_e32 v45, v80, v45
	v_add_f32_e32 v80, v93, v82
	;; [unrolled: 1-line block ×3, first 2 shown]
	v_fmamk_f32 v86, v42, 0xbf59a7d5, v91
	v_fma_f32 v97, 0xbf59a7d5, v43, -v98
	v_mul_f32_e32 v93, 0x3f763a35, v79
	v_mul_f32_e32 v99, 0x3f763a35, v83
	v_sub_f32_e32 v90, v17, v19
	v_sub_f32_e32 v101, v16, v18
	v_add_f32_e32 v81, v81, v44
	v_add_f32_e32 v44, v86, v80
	v_add_f32_e32 v80, v97, v82
	v_fmamk_f32 v82, v46, 0xbe8c1d8e, v93
	v_fma_f32 v97, 0xbe8c1d8e, v47, -v99
	v_mul_f32_e32 v86, 0x3f65296c, v85
	v_mul_f32_e32 v100, 0x3f65296c, v94
	v_add_f32_e32 v50, v18, v16
	v_add_f32_e32 v51, v19, v17
	v_mul_f32_e32 v66, 0xbe3c28d5, v90
	v_mul_f32_e32 v68, 0xbe3c28d5, v101
	v_add_f32_e32 v44, v82, v44
	v_add_f32_e32 v80, v97, v80
	v_fmamk_f32 v103, v48, 0x3ee437d1, v86
	v_fma_f32 v104, 0x3ee437d1, v49, -v100
	v_mul_f32_e32 v82, 0x3eb8f4ab, v90
	v_mul_f32_e32 v97, 0x3eb8f4ab, v101
	v_fmamk_f32 v102, v50, 0xbf7ba420, v66
	v_fma_f32 v105, 0xbf7ba420, v51, -v68
	v_add_f32_e32 v103, v103, v44
	v_add_f32_e32 v104, v104, v80
	v_fmamk_f32 v80, v50, 0x3f6eb680, v82
	v_fma_f32 v106, 0x3f6eb680, v51, -v97
	v_add_f32_e32 v44, v102, v45
	v_add_f32_e32 v45, v105, v81
	;; [unrolled: 1-line block ×4, first 2 shown]
	s_barrier
	buffer_gl0_inv
	s_and_saveexec_b32 s4, vcc_lo
	s_cbranch_execz .LBB0_7
; %bb.6:
	v_mul_f32_e32 v104, 0xbe3c28d5, v72
	v_add_f32_e32 v3, v3, v1
	v_add_f32_e32 v2, v2, v0
	v_mul_f32_e32 v103, 0x3eb8f4ab, v71
	v_mul_f32_e32 v102, 0xbf06c442, v74
	v_fmamk_f32 v105, v37, 0xbf7ba420, v104
	v_add_f32_e32 v3, v25, v3
	v_add_f32_e32 v2, v24, v2
	v_fmamk_f32 v106, v36, 0x3f6eb680, v103
	v_mul_f32_e32 v24, 0x3f2c7751, v76
	v_add_f32_e32 v105, v105, v1
	v_add_f32_e32 v3, v27, v3
	;; [unrolled: 1-line block ×3, first 2 shown]
	v_fmamk_f32 v26, v39, 0xbf59a7d5, v102
	v_mul_f32_e32 v25, 0xbf4c4adb, v78
	v_add_f32_e32 v27, v106, v105
	v_add_f32_e32 v3, v21, v3
	;; [unrolled: 1-line block ×3, first 2 shown]
	v_mul_f32_e32 v105, 0xbe3c28d5, v69
	v_fmamk_f32 v20, v41, 0x3f3d2fb0, v24
	v_add_f32_e32 v21, v26, v27
	v_add_f32_e32 v3, v23, v3
	;; [unrolled: 1-line block ×3, first 2 shown]
	v_fmamk_f32 v22, v43, 0xbf1a4643, v25
	v_fma_f32 v23, 0xbf7ba420, v34, -v105
	v_add_f32_e32 v20, v20, v21
	v_add_f32_e32 v3, v29, v3
	;; [unrolled: 1-line block ×3, first 2 shown]
	v_mul_f32_e32 v111, 0x3eb8f4ab, v70
	v_add_f32_e32 v21, v23, v0
	v_add_f32_e32 v20, v22, v20
	v_add_f32_e32 v3, v31, v3
	v_add_f32_e32 v2, v30, v2
	v_fma_f32 v22, 0x3f6eb680, v35, -v111
	v_mul_f32_e32 v110, 0xbf06c442, v73
	v_mul_f32_e32 v107, 0x3f2c7751, v75
	v_add_f32_e32 v3, v17, v3
	v_add_f32_e32 v2, v16, v2
	;; [unrolled: 1-line block ×3, first 2 shown]
	v_fma_f32 v17, 0xbf59a7d5, v38, -v110
	v_mul_f32_e32 v109, 0xbf4c4adb, v77
	v_add_f32_e32 v3, v19, v3
	v_add_f32_e32 v2, v18, v2
	v_mul_f32_e32 v27, 0xbf06c442, v72
	v_add_f32_e32 v16, v17, v16
	v_fma_f32 v17, 0x3f3d2fb0, v40, -v107
	v_add_f32_e32 v3, v13, v3
	v_add_f32_e32 v2, v12, v2
	v_fmamk_f32 v13, v37, 0xbf59a7d5, v27
	v_mul_f32_e32 v18, 0x3f4c4adb, v76
	v_add_f32_e32 v16, v17, v16
	v_fma_f32 v17, 0xbf1a4643, v42, -v109
	v_add_f32_e32 v2, v14, v2
	v_add_f32_e32 v3, v15, v3
	;; [unrolled: 1-line block ×3, first 2 shown]
	v_mul_f32_e32 v122, 0xbf06c442, v69
	v_add_f32_e32 v12, v17, v16
	v_mul_f32_e32 v17, 0x3f65296c, v71
	v_mul_f32_e32 v16, 0xbf7ee86f, v74
	v_add_f32_e32 v2, v8, v2
	v_add_f32_e32 v3, v9, v3
	v_mul_f32_e32 v29, 0x3f65296c, v83
	v_fmamk_f32 v14, v36, 0x3ee437d1, v17
	v_mul_f32_e32 v21, 0x3f65296c, v79
	v_add_f32_e32 v2, v10, v2
	v_add_f32_e32 v3, v11, v3
	v_fmamk_f32 v10, v41, 0xbf1a4643, v18
	v_add_f32_e32 v9, v14, v13
	v_fmamk_f32 v13, v39, 0x3dbcf732, v16
	v_add_f32_e32 v2, v4, v2
	v_fma_f32 v4, 0xbf59a7d5, v34, -v122
	v_mul_f32_e32 v123, 0x3f65296c, v70
	v_fmamk_f32 v19, v47, 0x3ee437d1, v29
	v_add_f32_e32 v9, v13, v9
	v_mul_f32_e32 v31, 0xbf763a35, v94
	v_fma_f32 v8, 0x3ee437d1, v46, -v21
	v_mul_f32_e32 v23, 0xbf763a35, v85
	v_add_f32_e32 v3, v5, v3
	v_mul_f32_e32 v26, 0xbeb8f4ab, v78
	v_add_f32_e32 v5, v10, v9
	v_add_f32_e32 v4, v4, v0
	v_fma_f32 v9, 0x3ee437d1, v35, -v123
	v_mul_f32_e32 v124, 0xbf7ee86f, v73
	v_add_f32_e32 v19, v19, v20
	v_fmamk_f32 v20, v49, 0xbe8c1d8e, v31
	v_mul_f32_e32 v22, 0x3f7ee86f, v101
	v_add_f32_e32 v8, v8, v12
	v_fma_f32 v11, 0xbe8c1d8e, v48, -v23
	v_add_f32_e32 v7, v7, v3
	v_add_f32_e32 v6, v6, v2
	v_fmamk_f32 v2, v43, 0x3f6eb680, v26
	v_add_f32_e32 v3, v9, v4
	v_fma_f32 v4, 0x3dbcf732, v38, -v124
	v_mul_f32_e32 v112, 0x3f4c4adb, v75
	v_mul_f32_e32 v106, 0xbe3c28d5, v83
	v_add_f32_e32 v19, v20, v19
	v_fmamk_f32 v9, v51, 0x3dbcf732, v22
	v_add_f32_e32 v8, v11, v8
	v_add_f32_e32 v3, v4, v3
	v_fma_f32 v4, 0xbf1a4643, v40, -v112
	v_add_f32_e32 v5, v2, v5
	v_fmamk_f32 v11, v47, 0xbf7ba420, v106
	v_mul_f32_e32 v132, 0xbf4c4adb, v69
	v_mul_f32_e32 v119, 0x3f7ee86f, v90
	;; [unrolled: 1-line block ×3, first 2 shown]
	v_add_f32_e32 v4, v4, v3
	v_add_f32_e32 v3, v9, v19
	;; [unrolled: 1-line block ×3, first 2 shown]
	v_fma_f32 v11, 0xbf1a4643, v34, -v132
	v_mul_f32_e32 v131, 0x3f763a35, v70
	v_fma_f32 v10, 0x3dbcf732, v50, -v119
	v_fma_f32 v12, 0x3f6eb680, v42, -v114
	v_mul_f32_e32 v115, 0xbe3c28d5, v79
	v_add_f32_e32 v11, v11, v0
	v_fma_f32 v13, 0xbe8c1d8e, v35, -v131
	v_mul_f32_e32 v120, 0xbeb8f4ab, v73
	v_add_f32_e32 v2, v10, v8
	v_add_f32_e32 v4, v12, v4
	v_fma_f32 v8, 0xbf7ba420, v46, -v115
	v_add_f32_e32 v11, v13, v11
	v_fma_f32 v13, 0x3f6eb680, v38, -v120
	v_mul_f32_e32 v121, 0xbf06c442, v75
	v_add_f32_e32 v5, v33, v7
	v_add_f32_e32 v7, v8, v4
	;; [unrolled: 1-line block ×4, first 2 shown]
	v_fma_f32 v13, 0xbf59a7d5, v40, -v121
	v_mul_f32_e32 v32, 0x3f7ee86f, v77
	v_mul_f32_e32 v116, 0x3f2c7751, v94
	;; [unrolled: 1-line block ×4, first 2 shown]
	v_add_f32_e32 v11, v13, v11
	v_fma_f32 v13, 0x3dbcf732, v42, -v32
	v_fmamk_f32 v10, v49, 0x3f3d2fb0, v116
	v_fma_f32 v8, 0x3f3d2fb0, v48, -v28
	v_mul_f32_e32 v113, 0xbf763a35, v101
	v_mul_f32_e32 v140, 0xbf4c4adb, v72
	v_mul_f32_e32 v30, 0xbf763a35, v90
	v_add_f32_e32 v11, v13, v11
	v_fma_f32 v13, 0x3f3d2fb0, v46, -v33
	v_mul_f32_e32 v20, 0xbe3c28d5, v85
	v_add_f32_e32 v6, v10, v9
	v_add_f32_e32 v8, v8, v7
	v_fmamk_f32 v7, v51, 0xbe8c1d8e, v113
	v_fmamk_f32 v9, v37, 0xbf1a4643, v140
	v_mul_f32_e32 v151, 0x3f763a35, v71
	v_fma_f32 v10, 0xbe8c1d8e, v50, -v30
	v_add_f32_e32 v11, v13, v11
	v_fma_f32 v13, 0xbf7ba420, v48, -v20
	v_mul_f32_e32 v147, 0xbf763a35, v69
	v_add_f32_e32 v9, v9, v1
	v_fmamk_f32 v12, v36, 0xbe8c1d8e, v151
	v_mul_f32_e32 v153, 0xbeb8f4ab, v74
	v_add_f32_e32 v7, v7, v6
	v_add_f32_e32 v6, v10, v8
	;; [unrolled: 1-line block ×3, first 2 shown]
	v_fma_f32 v13, 0xbe8c1d8e, v34, -v147
	v_mul_f32_e32 v133, 0x3f06c442, v70
	v_add_f32_e32 v9, v12, v9
	v_fmamk_f32 v12, v39, 0x3f6eb680, v153
	v_mul_f32_e32 v154, 0xbf06c442, v76
	v_add_f32_e32 v13, v13, v0
	v_fma_f32 v15, 0xbf59a7d5, v35, -v133
	v_mul_f32_e32 v134, 0x3f2c7751, v73
	v_add_f32_e32 v9, v12, v9
	v_fmamk_f32 v12, v41, 0xbf59a7d5, v154
	v_mul_f32_e32 v149, 0x3f7ee86f, v78
	v_add_f32_e32 v13, v15, v13
	;; [unrolled: 6-line block ×4, first 2 shown]
	v_fma_f32 v15, 0xbf7ba420, v42, -v136
	v_mul_f32_e32 v137, 0x3f7ee86f, v79
	v_add_f32_e32 v9, v12, v9
	v_fmamk_f32 v12, v49, 0xbf7ba420, v139
	v_mul_f32_e32 v143, 0x3f65296c, v101
	v_mul_f32_e32 v150, 0xbf763a35, v72
	;; [unrolled: 1-line block ×3, first 2 shown]
	v_add_f32_e32 v13, v15, v13
	v_fma_f32 v15, 0x3dbcf732, v46, -v137
	v_mul_f32_e32 v138, 0xbeb8f4ab, v85
	v_add_f32_e32 v8, v12, v9
	v_fmamk_f32 v9, v51, 0x3ee437d1, v143
	v_fmamk_f32 v11, v37, 0xbe8c1d8e, v150
	v_mul_f32_e32 v156, 0x3f06c442, v71
	v_fma_f32 v12, 0x3ee437d1, v50, -v19
	v_add_f32_e32 v13, v15, v13
	v_fma_f32 v15, 0x3f6eb680, v48, -v138
	v_mul_f32_e32 v158, 0xbf7ee86f, v72
	v_mul_f32_e32 v152, 0xbf7ee86f, v69
	v_add_f32_e32 v11, v11, v1
	v_fmamk_f32 v14, v36, 0xbf59a7d5, v156
	v_mul_f32_e32 v157, 0x3f2c7751, v74
	v_add_f32_e32 v9, v9, v8
	v_add_f32_e32 v8, v12, v10
	;; [unrolled: 1-line block ×3, first 2 shown]
	v_fmamk_f32 v13, v37, 0x3dbcf732, v158
	v_mul_f32_e32 v166, 0xbe3c28d5, v71
	v_fma_f32 v15, 0x3dbcf732, v34, -v152
	v_mul_f32_e32 v125, 0xbe3c28d5, v70
	v_add_f32_e32 v11, v14, v11
	v_fmamk_f32 v14, v39, 0x3f3d2fb0, v157
	v_mul_f32_e32 v155, 0xbf65296c, v76
	v_add_f32_e32 v13, v13, v1
	v_fmamk_f32 v127, v36, 0xbf7ba420, v166
	v_mul_f32_e32 v167, 0x3f763a35, v74
	v_add_f32_e32 v15, v15, v0
	v_fma_f32 v128, 0xbf7ba420, v35, -v125
	v_mul_f32_e32 v126, 0x3f763a35, v73
	v_add_f32_e32 v11, v14, v11
	v_fmamk_f32 v14, v41, 0x3ee437d1, v155
	v_mul_f32_e32 v145, 0xbe3c28d5, v78
	v_add_f32_e32 v13, v127, v13
	v_fmamk_f32 v129, v39, 0xbe8c1d8e, v167
	v_mul_f32_e32 v168, 0x3eb8f4ab, v76
	v_add_f32_e32 v15, v128, v15
	v_fma_f32 v128, 0xbe8c1d8e, v38, -v126
	v_mul_f32_e32 v127, 0x3eb8f4ab, v75
	v_add_f32_e32 v11, v14, v11
	v_fmamk_f32 v14, v43, 0xbf7ba420, v145
	v_mul_f32_e32 v144, 0x3f7ee86f, v83
	v_add_f32_e32 v13, v129, v13
	v_fmamk_f32 v129, v41, 0x3f6eb680, v168
	v_add_f32_e32 v15, v128, v15
	v_fma_f32 v130, 0x3f6eb680, v40, -v127
	v_mul_f32_e32 v128, 0xbf65296c, v77
	v_add_f32_e32 v11, v14, v11
	v_fmamk_f32 v14, v47, 0x3dbcf732, v144
	v_mul_f32_e32 v142, 0xbeb8f4ab, v94
	v_add_f32_e32 v13, v129, v13
	v_add_f32_e32 v15, v130, v15
	v_fma_f32 v130, 0x3ee437d1, v42, -v128
	v_mul_f32_e32 v129, 0xbf06c442, v79
	v_add_f32_e32 v11, v14, v11
	v_fmamk_f32 v14, v49, 0x3f6eb680, v142
	v_mul_f32_e32 v146, 0xbf4c4adb, v101
	v_mul_f32_e32 v141, 0xbf4c4adb, v90
	v_add_f32_e32 v15, v130, v15
	v_fma_f32 v160, 0xbf59a7d5, v46, -v129
	v_mul_f32_e32 v130, 0x3f4c4adb, v85
	v_add_f32_e32 v10, v14, v11
	v_fmamk_f32 v11, v51, 0xbf1a4643, v146
	v_fma_f32 v14, 0xbf1a4643, v50, -v141
	v_add_f32_e32 v15, v160, v15
	v_fma_f32 v161, 0xbf1a4643, v48, -v130
	v_mul_f32_e32 v160, 0xbf65296c, v72
	v_add_f32_e32 v11, v11, v10
	v_add_f32_e32 v10, v14, v12
	v_mul_f32_e32 v162, 0xbf4c4adb, v71
	v_add_f32_e32 v14, v161, v15
	v_mul_f32_e32 v161, 0xbf65296c, v69
	v_fmamk_f32 v15, v37, 0x3ee437d1, v160
	v_mul_f32_e32 v70, 0xbf4c4adb, v70
	v_mul_f32_e32 v169, 0xbf65296c, v78
	v_fmamk_f32 v164, v36, 0xbf1a4643, v162
	v_fma_f32 v69, 0x3ee437d1, v34, -v161
	v_add_f32_e32 v15, v15, v1
	v_mul_f32_e32 v163, 0x3e3c28d5, v74
	v_fma_f32 v74, 0xbf1a4643, v35, -v70
	v_mul_f32_e32 v71, 0x3e3c28d5, v73
	v_add_f32_e32 v69, v69, v0
	v_fmamk_f32 v159, v43, 0x3ee437d1, v169
	v_mul_f32_e32 v170, 0xbf06c442, v83
	v_add_f32_e32 v15, v164, v15
	v_fmamk_f32 v172, v39, 0xbf7ba420, v163
	v_mul_f32_e32 v164, 0x3f763a35, v76
	v_add_f32_e32 v69, v74, v69
	v_fma_f32 v74, 0xbf7ba420, v38, -v71
	v_mul_f32_e32 v73, 0x3f763a35, v75
	v_add_f32_e32 v13, v159, v13
	v_fmamk_f32 v159, v47, 0xbf59a7d5, v170
	v_mul_f32_e32 v165, 0x3f4c4adb, v94
	v_add_f32_e32 v15, v172, v15
	v_fmamk_f32 v75, v41, 0xbe8c1d8e, v164
	v_mul_f32_e32 v78, 0x3f2c7751, v78
	v_add_f32_e32 v69, v74, v69
	v_fma_f32 v76, 0xbe8c1d8e, v40, -v73
	v_mul_f32_e32 v74, 0x3f2c7751, v77
	v_add_f32_e32 v13, v159, v13
	v_fmamk_f32 v159, v49, 0xbf1a4643, v165
	v_add_f32_e32 v15, v75, v15
	v_fmamk_f32 v172, v43, 0x3f3d2fb0, v78
	v_mul_f32_e32 v77, 0xbeb8f4ab, v83
	v_add_f32_e32 v69, v76, v69
	v_fma_f32 v76, 0x3f3d2fb0, v42, -v74
	v_mul_f32_e32 v75, 0xbeb8f4ab, v79
	v_add_f32_e32 v12, v159, v13
	v_mul_f32_e32 v159, 0x3f2c7751, v101
	v_mul_f32_e32 v72, 0x3f2c7751, v90
	v_add_f32_e32 v15, v172, v15
	v_fmamk_f32 v83, v47, 0x3f6eb680, v77
	v_mul_f32_e32 v79, 0xbf7ee86f, v94
	v_add_f32_e32 v94, v76, v69
	v_fma_f32 v172, 0x3f6eb680, v46, -v75
	v_mul_f32_e32 v69, 0xbf7ee86f, v85
	v_fmamk_f32 v13, v51, 0x3f3d2fb0, v159
	v_fma_f32 v171, 0x3f3d2fb0, v50, -v72
	v_add_f32_e32 v15, v83, v15
	v_fmamk_f32 v83, v49, 0x3dbcf732, v79
	v_mul_f32_e32 v76, 0xbf06c442, v101
	v_add_f32_e32 v85, v172, v94
	v_fma_f32 v94, 0x3dbcf732, v48, -v69
	v_add_f32_e32 v13, v13, v12
	v_add_f32_e32 v15, v83, v15
	v_fmamk_f32 v101, v51, 0xbf59a7d5, v76
	v_add_f32_e32 v12, v171, v14
	v_add_f32_e32 v14, v94, v85
	v_mul_f32_e32 v85, 0x3f3d2fb0, v37
	v_mul_f32_e32 v83, 0xbf06c442, v90
	;; [unrolled: 1-line block ×3, first 2 shown]
	v_add_f32_e32 v15, v101, v15
	v_mul_f32_e32 v94, 0x3dbcf732, v36
	v_add_f32_e32 v85, v87, v85
	v_mul_f32_e32 v101, 0x3dbcf732, v35
	v_sub_f32_e32 v67, v90, v67
	v_fma_f32 v87, 0xbf59a7d5, v50, -v83
	v_add_f32_e32 v90, v92, v94
	v_add_f32_e32 v85, v85, v1
	v_mul_f32_e32 v92, 0xbf1a4643, v39
	v_sub_f32_e32 v84, v101, v84
	v_add_f32_e32 v67, v67, v0
	v_mul_f32_e32 v94, 0xbf1a4643, v38
	v_add_f32_e32 v85, v90, v85
	v_add_f32_e32 v90, v95, v92
	v_mul_f32_e32 v92, 0xbf7ba420, v41
	v_add_f32_e32 v67, v84, v67
	v_sub_f32_e32 v84, v94, v88
	v_mul_f32_e32 v88, 0xbf7ba420, v40
	v_add_f32_e32 v85, v90, v85
	v_add_f32_e32 v90, v96, v92
	v_mul_f32_e32 v92, 0xbf59a7d5, v43
	v_add_f32_e32 v67, v84, v67
	v_sub_f32_e32 v84, v88, v89
	;; [unrolled: 6-line block ×3, first 2 shown]
	v_mul_f32_e32 v88, 0xbe8c1d8e, v46
	v_add_f32_e32 v85, v89, v85
	v_add_f32_e32 v89, v99, v90
	;; [unrolled: 1-line block ×4, first 2 shown]
	v_sub_f32_e32 v84, v88, v93
	v_mul_f32_e32 v87, 0x3ee437d1, v48
	v_mul_f32_e32 v90, 0x3ee437d1, v49
	v_add_f32_e32 v85, v89, v85
	v_mul_f32_e32 v89, 0x3f6eb680, v37
	v_add_f32_e32 v67, v84, v67
	v_sub_f32_e32 v86, v87, v86
	v_mul_f32_e32 v87, 0x3f3d2fb0, v36
	v_add_f32_e32 v88, v100, v90
	v_add_f32_e32 v54, v54, v89
	v_fmac_f32_e32 v105, 0xbf7ba420, v34
	v_add_f32_e32 v67, v86, v67
	v_mul_f32_e32 v86, 0x3f6eb680, v50
	v_add_f32_e32 v56, v56, v87
	v_mul_f32_e32 v87, 0x3f6eb680, v34
	v_add_f32_e32 v85, v88, v85
	v_add_f32_e32 v54, v54, v1
	v_mul_f32_e32 v88, 0x3ee437d1, v39
	v_sub_f32_e32 v82, v86, v82
	v_mul_f32_e32 v86, 0x3f3d2fb0, v35
	v_sub_f32_e32 v52, v87, v52
	v_add_f32_e32 v54, v56, v54
	v_add_f32_e32 v56, v57, v88
	v_mul_f32_e32 v57, 0x3dbcf732, v41
	v_sub_f32_e32 v53, v86, v53
	v_add_f32_e32 v52, v52, v0
	v_mul_f32_e32 v86, 0x3ee437d1, v38
	v_add_f32_e32 v54, v56, v54
	v_add_f32_e32 v56, v61, v57
	v_mul_f32_e32 v57, 0xbe8c1d8e, v43
	v_add_f32_e32 v52, v53, v52
	v_sub_f32_e32 v53, v86, v55
	v_mul_f32_e32 v55, 0x3dbcf732, v40
	v_add_f32_e32 v54, v56, v54
	v_add_f32_e32 v56, v63, v57
	v_mul_f32_e32 v57, 0xbf1a4643, v47
	v_add_f32_e32 v52, v53, v52
	v_sub_f32_e32 v55, v55, v58
	v_mul_f32_e32 v58, 0xbe8c1d8e, v42
	v_add_f32_e32 v54, v56, v54
	v_add_f32_e32 v56, v64, v57
	v_fmac_f32_e32 v111, 0x3f6eb680, v35
	v_add_f32_e32 v52, v55, v52
	v_mul_f32_e32 v55, 0xbf59a7d5, v49
	v_sub_f32_e32 v57, v58, v60
	v_mul_f32_e32 v58, 0xbf1a4643, v46
	v_fma_f32 v60, 0xbf7ba420, v37, -v104
	v_add_f32_e32 v54, v56, v54
	v_add_f32_e32 v55, v65, v55
	;; [unrolled: 1-line block ×3, first 2 shown]
	v_sub_f32_e32 v57, v58, v62
	v_add_f32_e32 v58, v60, v1
	v_fma_f32 v60, 0x3f6eb680, v36, -v103
	v_add_f32_e32 v54, v55, v54
	v_fma_f32 v24, 0x3f3d2fb0, v41, -v24
	;; [unrolled: 2-line block ×3, first 2 shown]
	v_add_f32_e32 v56, v60, v58
	v_add_f32_e32 v58, v105, v0
	v_fmac_f32_e32 v110, 0xbf59a7d5, v38
	v_mul_f32_e32 v60, 0xbf59a7d5, v48
	v_mul_f32_e32 v61, 0xbf7ba420, v51
	v_add_f32_e32 v56, v57, v56
	v_add_f32_e32 v57, v111, v58
	v_fma_f32 v25, 0xbf1a4643, v43, -v25
	v_fmac_f32_e32 v107, 0x3f3d2fb0, v40
	v_sub_f32_e32 v58, v60, v59
	v_add_f32_e32 v24, v24, v56
	v_add_f32_e32 v56, v110, v57
	;; [unrolled: 1-line block ×3, first 2 shown]
	v_fma_f32 v29, 0x3ee437d1, v47, -v29
	v_fmac_f32_e32 v109, 0xbf1a4643, v42
	v_add_f32_e32 v24, v25, v24
	v_add_f32_e32 v56, v107, v56
	;; [unrolled: 1-line block ×3, first 2 shown]
	v_fma_f32 v31, 0xbe8c1d8e, v49, -v31
	v_fmac_f32_e32 v21, 0x3ee437d1, v46
	v_add_f32_e32 v29, v29, v24
	v_add_f32_e32 v54, v109, v56
	v_fma_f32 v27, 0xbf59a7d5, v37, -v27
	v_fmac_f32_e32 v122, 0xbf59a7d5, v34
	v_fmac_f32_e32 v23, 0xbe8c1d8e, v48
	v_add_f32_e32 v29, v31, v29
	v_add_f32_e32 v21, v21, v54
	;; [unrolled: 1-line block ×3, first 2 shown]
	v_fma_f32 v17, 0x3ee437d1, v36, -v17
	v_add_f32_e32 v31, v122, v0
	v_fmac_f32_e32 v123, 0x3ee437d1, v35
	v_add_f32_e32 v21, v23, v21
	v_fma_f32 v22, 0x3dbcf732, v51, -v22
	v_add_f32_e32 v23, v17, v27
	v_fma_f32 v16, 0x3dbcf732, v39, -v16
	v_add_f32_e32 v27, v123, v31
	v_fmac_f32_e32 v124, 0x3dbcf732, v38
	v_fmac_f32_e32 v119, 0x3dbcf732, v50
	v_add_f32_e32 v17, v22, v29
	v_add_f32_e32 v22, v16, v23
	v_fma_f32 v18, 0xbf1a4643, v41, -v18
	v_add_f32_e32 v23, v124, v27
	v_fmac_f32_e32 v112, 0xbf1a4643, v40
	v_add_f32_e32 v16, v119, v21
	v_fma_f32 v21, 0xbf1a4643, v37, -v140
	v_add_f32_e32 v18, v18, v22
	v_fma_f32 v22, 0x3f6eb680, v43, -v26
	v_add_f32_e32 v23, v112, v23
	v_fmac_f32_e32 v114, 0x3f6eb680, v42
	v_add_f32_e32 v21, v21, v1
	v_fma_f32 v26, 0xbe8c1d8e, v36, -v151
	;; [unrolled: 6-line block ×4, first 2 shown]
	v_fmac_f32_e32 v132, 0xbf1a4643, v34
	v_add_f32_e32 v18, v22, v18
	v_add_f32_e32 v23, v28, v23
	v_fma_f32 v22, 0xbe8c1d8e, v51, -v113
	v_add_f32_e32 v21, v26, v21
	v_fma_f32 v26, 0x3dbcf732, v43, -v149
	v_add_f32_e32 v27, v132, v0
	v_fmac_f32_e32 v131, 0xbe8c1d8e, v35
	v_fmac_f32_e32 v30, 0xbe8c1d8e, v50
	v_add_f32_e32 v22, v22, v18
	v_add_f32_e32 v18, v26, v21
	v_fma_f32 v26, 0x3f3d2fb0, v47, -v148
	v_add_f32_e32 v27, v131, v27
	v_fmac_f32_e32 v120, 0x3f6eb680, v38
	v_add_f32_e32 v21, v30, v23
	v_fma_f32 v23, 0xbe8c1d8e, v37, -v150
	v_add_f32_e32 v18, v26, v18
	v_fma_f32 v26, 0xbf7ba420, v49, -v139
	v_add_f32_e32 v27, v120, v27
	v_fmac_f32_e32 v121, 0xbf59a7d5, v40
	v_add_f32_e32 v23, v23, v1
	v_fma_f32 v28, 0xbf59a7d5, v36, -v156
	;; [unrolled: 6-line block ×3, first 2 shown]
	v_fmac_f32_e32 v147, 0xbe8c1d8e, v34
	v_add_f32_e32 v27, v26, v18
	v_add_f32_e32 v18, v32, v29
	v_fmac_f32_e32 v33, 0x3f3d2fb0, v46
	v_add_f32_e32 v23, v28, v23
	v_fma_f32 v26, 0x3ee437d1, v41, -v155
	v_add_f32_e32 v28, v147, v0
	v_fmac_f32_e32 v133, 0xbf59a7d5, v35
	v_fma_f32 v29, 0x3dbcf732, v37, -v158
	v_add_f32_e32 v18, v33, v18
	v_fmac_f32_e32 v20, 0xbf7ba420, v48
	v_add_f32_e32 v23, v26, v23
	v_add_f32_e32 v26, v133, v28
	v_fmac_f32_e32 v134, 0x3f3d2fb0, v38
	v_fma_f32 v28, 0xbf7ba420, v43, -v145
	v_add_f32_e32 v29, v29, v1
	v_fma_f32 v30, 0xbf7ba420, v36, -v166
	v_add_f32_e32 v18, v20, v18
	v_add_f32_e32 v20, v134, v26
	v_fmac_f32_e32 v135, 0x3ee437d1, v40
	v_add_f32_e32 v23, v28, v23
	v_add_f32_e32 v26, v30, v29
	v_fma_f32 v28, 0xbe8c1d8e, v39, -v167
	v_fma_f32 v29, 0x3dbcf732, v47, -v144
	v_add_f32_e32 v20, v135, v20
	v_fmac_f32_e32 v136, 0xbf7ba420, v42
	v_fmac_f32_e32 v19, 0x3ee437d1, v50
	v_add_f32_e32 v26, v28, v26
	v_fma_f32 v28, 0x3f6eb680, v41, -v168
	v_add_f32_e32 v23, v29, v23
	v_add_f32_e32 v20, v136, v20
	v_fmac_f32_e32 v137, 0x3dbcf732, v46
	v_fma_f32 v29, 0x3f6eb680, v49, -v142
	v_add_f32_e32 v28, v28, v26
	v_fma_f32 v30, 0x3ee437d1, v43, -v169
	v_add_f32_e32 v26, v19, v18
	v_add_f32_e32 v18, v137, v20
	;; [unrolled: 1-line block ×3, first 2 shown]
	v_fma_f32 v23, 0xbf59a7d5, v47, -v170
	v_add_f32_e32 v20, v30, v28
	v_fma_f32 v28, 0xbf1a4643, v51, -v146
	v_fmac_f32_e32 v152, 0x3dbcf732, v34
	v_fmac_f32_e32 v161, 0x3ee437d1, v34
	v_fmac_f32_e32 v125, 0xbf7ba420, v35
	v_add_f32_e32 v20, v23, v20
	v_fma_f32 v23, 0xbf1a4643, v49, -v165
	v_add_f32_e32 v19, v28, v19
	v_add_f32_e32 v28, v152, v0
	;; [unrolled: 1-line block ×3, first 2 shown]
	v_fmac_f32_e32 v70, 0xbf1a4643, v35
	v_add_f32_e32 v20, v23, v20
	v_fma_f32 v23, 0x3ee437d1, v37, -v160
	v_add_f32_e32 v28, v125, v28
	v_fmac_f32_e32 v126, 0xbe8c1d8e, v38
	v_add_f32_e32 v0, v70, v0
	v_fmac_f32_e32 v71, 0xbf7ba420, v38
	v_add_f32_e32 v1, v23, v1
	v_fma_f32 v23, 0xbf1a4643, v36, -v162
	v_add_f32_e32 v28, v126, v28
	v_fmac_f32_e32 v127, 0x3f6eb680, v40
	v_add_f32_e32 v0, v71, v0
	;; [unrolled: 6-line block ×3, first 2 shown]
	v_fmac_f32_e32 v74, 0x3f3d2fb0, v42
	v_add_f32_e32 v1, v23, v1
	v_fma_f32 v23, 0xbe8c1d8e, v41, -v164
	v_mul_f32_e32 v57, 0xbf7ba420, v50
	v_add_f32_e32 v28, v128, v28
	v_fmac_f32_e32 v129, 0xbf59a7d5, v46
	v_add_f32_e32 v0, v74, v0
	v_add_f32_e32 v1, v23, v1
	v_fma_f32 v23, 0x3f3d2fb0, v43, -v78
	v_fmac_f32_e32 v75, 0x3f6eb680, v46
	v_mul_f32_e32 v84, 0x3f6eb680, v51
	v_add_f32_e32 v55, v58, v55
	v_sub_f32_e32 v57, v57, v66
	v_add_f32_e32 v1, v23, v1
	v_fma_f32 v23, 0x3f6eb680, v47, -v77
	v_fmac_f32_e32 v138, 0x3f6eb680, v48
	v_add_f32_e32 v28, v129, v28
	v_fmac_f32_e32 v130, 0xbf1a4643, v48
	v_add_f32_e32 v0, v75, v0
	v_add_f32_e32 v1, v23, v1
	v_fma_f32 v23, 0x3dbcf732, v49, -v79
	v_fmac_f32_e32 v69, 0x3dbcf732, v48
	v_mul_lo_u16 v30, v118, 17
	v_mov_b32_e32 v31, 3
	v_add_f32_e32 v84, v97, v84
	v_add_f32_e32 v24, v57, v55
	;; [unrolled: 1-line block ×3, first 2 shown]
	v_fmac_f32_e32 v141, 0xbf1a4643, v50
	v_fma_f32 v29, 0x3f3d2fb0, v51, -v159
	v_add_f32_e32 v28, v130, v28
	v_fmac_f32_e32 v72, 0x3f3d2fb0, v50
	v_add_f32_e32 v23, v23, v1
	v_fma_f32 v32, 0xbf59a7d5, v51, -v76
	v_add_f32_e32 v33, v69, v0
	v_fmac_f32_e32 v83, 0xbf59a7d5, v50
	v_lshlrev_b32_sdwa v30, v31, v30 dst_sel:DWORD dst_unused:UNUSED_PAD src0_sel:DWORD src1_sel:WORD_0
	v_add_f32_e32 v53, v84, v85
	v_add_f32_e32 v52, v82, v67
	;; [unrolled: 1-line block ×7, first 2 shown]
	ds_write2_b64 v30, v[4:5], v[24:25] offset1:1
	ds_write2_b64 v30, v[52:53], v[14:15] offset0:2 offset1:3
	ds_write2_b64 v30, v[12:13], v[10:11] offset0:4 offset1:5
	;; [unrolled: 1-line block ×7, first 2 shown]
	ds_write_b64 v30, v[44:45] offset:128
.LBB0_7:
	s_or_b32 exec_lo, exec_lo, s4
	v_and_b32_e32 v0, 0xff, v118
	s_load_dwordx4 s[4:7], s[0:1], 0x0
	v_mov_b32_e32 v1, 0xf0f1
	v_add_co_u32 v82, s0, 0xcc, v118
	v_mul_lo_u16 v0, 0xf1, v0
	v_add_co_u32 v2, null, 0x132, v118
	v_add_co_u32 v3, null, 0x198, v118
	v_lshrrev_b16 v50, 12, v0
	v_mul_u32_u24_sdwa v0, v82, v1 dst_sel:DWORD dst_unused:UNUSED_PAD src0_sel:WORD_0 src1_sel:DWORD
	v_add_co_ci_u32_e64 v83, null, 0, 0, s0
	v_add_co_u32 v84, s0, 0x66, v118
	v_lshrrev_b32_e32 v51, 20, v0
	v_mul_u32_u24_sdwa v0, v2, v1 dst_sel:DWORD dst_unused:UNUSED_PAD src0_sel:WORD_0 src1_sel:DWORD
	v_mul_lo_u16 v4, v50, 17
	v_mul_u32_u24_sdwa v1, v3, v1 dst_sel:DWORD dst_unused:UNUSED_PAD src0_sel:WORD_0 src1_sel:DWORD
	v_mov_b32_e32 v7, 3
	v_mul_lo_u16 v5, v51, 17
	v_lshrrev_b32_e32 v56, 20, v0
	v_sub_nc_u16 v4, v118, v4
	v_and_b32_e32 v0, 0xff, v84
	v_lshrrev_b32_e32 v58, 20, v1
	v_sub_nc_u16 v59, v82, v5
	v_mul_lo_u16 v1, v56, 17
	v_and_b32_e32 v57, 0xff, v4
	v_mul_lo_u16 v4, 0xf1, v0
	v_mul_lo_u16 v6, v58, 17
	s_waitcnt lgkmcnt(0)
	v_sub_nc_u16 v60, v2, v1
	v_lshlrev_b16 v1, 1, v59
	v_lshrrev_b16 v61, 12, v4
	v_sub_nc_u16 v62, v3, v6
	s_barrier
	v_lshlrev_b16 v2, 1, v60
	v_lshlrev_b32_sdwa v1, v7, v1 dst_sel:DWORD dst_unused:UNUSED_PAD src0_sel:DWORD src1_sel:WORD_0
	v_mul_lo_u16 v3, v61, 17
	buffer_gl0_inv
	v_lshlrev_b32_e32 v5, 4, v57
	v_lshlrev_b32_sdwa v2, v7, v2 dst_sel:DWORD dst_unused:UNUSED_PAD src0_sel:DWORD src1_sel:WORD_0
	global_load_dwordx4 v[16:19], v1, s[2:3]
	v_lshlrev_b16 v4, 1, v62
	v_lshlrev_b32_sdwa v119, v7, v118 dst_sel:DWORD dst_unused:UNUSED_PAD src0_sel:DWORD src1_sel:WORD_0
	s_clause 0x1
	global_load_dwordx4 v[20:23], v5, s[2:3]
	global_load_dwordx4 v[12:15], v2, s[2:3]
	v_sub_nc_u16 v1, v84, v3
	v_lshlrev_b32_sdwa v3, v7, v4 dst_sel:DWORD dst_unused:UNUSED_PAD src0_sel:DWORD src1_sel:WORD_0
	v_add_nc_u32_e32 v28, 0x800, v119
	v_add_nc_u32_e32 v68, 0x1c00, v119
	v_add_nc_u32_e32 v32, 0x1000, v119
	v_and_b32_e32 v63, 0xff, v1
	global_load_dwordx4 v[8:11], v3, s[2:3]
	ds_read2_b64 v[52:55], v28 offset0:152 offset1:254
	v_add_nc_u32_e32 v65, 0x400, v119
	v_add_nc_u32_e32 v76, 0x2400, v119
	v_lshlrev_b32_e32 v1, 4, v63
	v_add_nc_u32_e32 v46, 0x1800, v119
	ds_read_b64 v[5:6], v119 offset:11424
	v_mov_b32_e32 v64, 51
	v_mad_u16 v51, v51, 51, v59
	global_load_dwordx4 v[24:27], v1, s[2:3]
	ds_read2_b64 v[1:4], v119 offset1:102
	ds_read2_b64 v[28:31], v68 offset0:124 offset1:226
	ds_read2_b64 v[32:35], v32 offset0:100 offset1:202
	;; [unrolled: 1-line block ×5, first 2 shown]
	v_mul_u32_u24_sdwa v50, v50, v64 dst_sel:DWORD dst_unused:UNUSED_PAD src0_sel:WORD_0 src1_sel:DWORD
	v_mad_u16 v56, v56, 51, v60
	v_mad_u16 v58, v58, 51, v62
	v_mul_u32_u24_sdwa v59, v61, v64 dst_sel:DWORD dst_unused:UNUSED_PAD src0_sel:WORD_0 src1_sel:DWORD
	v_lshlrev_b32_sdwa v123, v7, v51 dst_sel:DWORD dst_unused:UNUSED_PAD src0_sel:DWORD src1_sel:WORD_0
	v_add_lshl_u32 v125, v50, v57, 3
	v_lshlrev_b32_sdwa v122, v7, v56 dst_sel:DWORD dst_unused:UNUSED_PAD src0_sel:DWORD src1_sel:WORD_0
	v_lshlrev_b32_sdwa v121, v7, v58 dst_sel:DWORD dst_unused:UNUSED_PAD src0_sel:DWORD src1_sel:WORD_0
	v_add_lshl_u32 v124, v59, v63, 3
	v_add_nc_u32_e32 v66, 0xc00, v119
	v_add_nc_u32_e32 v69, 0x1400, v119
	s_waitcnt vmcnt(0) lgkmcnt(0)
	s_barrier
	buffer_gl0_inv
	v_add_co_ci_u32_e64 v85, null, 0, 0, s0
	v_cmp_gt_u16_e64 s0, 51, v118
	v_mul_f32_e32 v58, v34, v17
	v_mul_f32_e32 v59, v41, v19
	;; [unrolled: 1-line block ×8, first 2 shown]
	v_fma_f32 v7, v54, v20, -v7
	v_fmac_f32_e32 v50, v55, v20
	v_fma_f32 v28, v28, v22, -v51
	v_mul_f32_e32 v72, v5, v11
	v_fmac_f32_e32 v56, v29, v22
	v_mul_f32_e32 v60, v40, v19
	v_mul_f32_e32 v62, v46, v13
	;; [unrolled: 1-line block ×11, first 2 shown]
	v_fmac_f32_e32 v58, v35, v16
	v_fma_f32 v35, v40, v18, -v59
	v_fma_f32 v40, v46, v12, -v61
	v_fmac_f32_e32 v72, v6, v10
	v_fma_f32 v29, v32, v24, -v29
	v_fmac_f32_e32 v51, v33, v24
	;; [unrolled: 2-line block ×3, first 2 shown]
	v_add_f32_e32 v6, v7, v28
	v_add_f32_e32 v30, v2, v50
	v_fma_f32 v34, v34, v16, -v57
	v_fmac_f32_e32 v60, v41, v18
	v_fmac_f32_e32 v62, v47, v12
	v_fma_f32 v41, v42, v14, -v63
	v_fmac_f32_e32 v64, v43, v14
	v_fma_f32 v42, v48, v8, -v67
	;; [unrolled: 2-line block ×3, first 2 shown]
	v_add_f32_e32 v31, v50, v56
	v_add_f32_e32 v5, v1, v7
	v_sub_f32_e32 v47, v50, v56
	v_fma_f32 v1, -0.5, v6, v1
	v_add_f32_e32 v6, v30, v56
	v_add_f32_e32 v56, v29, v46
	v_sub_f32_e32 v74, v51, v55
	v_add_f32_e32 v75, v4, v51
	v_add_f32_e32 v51, v51, v55
	;; [unrolled: 1-line block ×4, first 2 shown]
	v_sub_f32_e32 v7, v7, v28
	v_add_f32_e32 v32, v36, v34
	v_sub_f32_e32 v54, v34, v35
	v_add_f32_e32 v34, v38, v40
	v_add_f32_e32 v57, v40, v41
	;; [unrolled: 1-line block ×4, first 2 shown]
	v_sub_f32_e32 v67, v70, v72
	v_add_f32_e32 v71, v53, v70
	v_add_f32_e32 v70, v70, v72
	v_fma_f32 v2, -0.5, v31, v2
	v_sub_f32_e32 v50, v58, v60
	v_add_f32_e32 v48, v37, v58
	v_sub_f32_e32 v58, v62, v64
	v_add_f32_e32 v59, v39, v62
	;; [unrolled: 2-line block ×4, first 2 shown]
	v_sub_f32_e32 v77, v29, v46
	v_fma_f32 v3, -0.5, v56, v3
	v_fmac_f32_e32 v4, -0.5, v51
	v_fma_f32 v30, -0.5, v33, v36
	v_fma_f32 v31, -0.5, v49, v37
	v_add_f32_e32 v5, v5, v28
	v_add_f32_e32 v28, v32, v35
	;; [unrolled: 1-line block ×3, first 2 shown]
	v_fma_f32 v38, -0.5, v57, v38
	v_fmac_f32_e32 v39, -0.5, v61
	v_fma_f32 v52, -0.5, v63, v52
	v_fmac_f32_e32 v53, -0.5, v70
	v_fmamk_f32 v34, v47, 0x3f5db3d7, v1
	v_fmamk_f32 v35, v7, 0xbf5db3d7, v2
	v_fmac_f32_e32 v1, 0xbf5db3d7, v47
	v_fmac_f32_e32 v2, 0x3f5db3d7, v7
	v_add_f32_e32 v36, v42, v46
	v_add_f32_e32 v37, v75, v55
	v_fmamk_f32 v46, v74, 0x3f5db3d7, v3
	v_fmamk_f32 v47, v77, 0xbf5db3d7, v4
	v_fmac_f32_e32 v3, 0xbf5db3d7, v74
	v_fmac_f32_e32 v4, 0x3f5db3d7, v77
	v_add_f32_e32 v29, v48, v60
	v_add_f32_e32 v48, v40, v43
	v_fmamk_f32 v40, v50, 0x3f5db3d7, v30
	v_fmamk_f32 v41, v54, 0xbf5db3d7, v31
	v_add_f32_e32 v33, v59, v64
	v_add_f32_e32 v49, v71, v72
	v_fmac_f32_e32 v30, 0xbf5db3d7, v50
	v_fmac_f32_e32 v31, 0x3f5db3d7, v54
	v_fmamk_f32 v42, v58, 0x3f5db3d7, v38
	v_fmac_f32_e32 v38, 0xbf5db3d7, v58
	v_fmamk_f32 v43, v62, 0xbf5db3d7, v39
	;; [unrolled: 2-line block ×4, first 2 shown]
	v_fmac_f32_e32 v53, 0x3f5db3d7, v73
	ds_write2_b64 v125, v[5:6], v[34:35] offset1:17
	ds_write_b64 v125, v[1:2] offset:272
	ds_write2_b64 v124, v[36:37], v[46:47] offset1:17
	ds_write_b64 v124, v[3:4] offset:272
	;; [unrolled: 2-line block ×5, first 2 shown]
	s_waitcnt lgkmcnt(0)
	s_barrier
	buffer_gl0_inv
	ds_read2_b64 v[56:59], v119 offset1:102
	ds_read2_b64 v[72:75], v65 offset0:127 offset1:229
	ds_read2_b64 v[64:67], v66 offset0:126 offset1:228
	;; [unrolled: 1-line block ×5, first 2 shown]
	s_and_saveexec_b32 s1, s0
	s_cbranch_execz .LBB0_9
; %bb.8:
	v_add_nc_u32_e32 v1, 0x1650, v119
	v_add_nc_u32_e32 v2, 0x660, v119
	ds_read2_b64 v[52:55], v1 offset1:255
	v_add_nc_u32_e32 v1, 0x2640, v119
	ds_read2_b64 v[48:51], v2 offset1:255
	ds_read2_b64 v[44:47], v1 offset1:255
	s_waitcnt lgkmcnt(2)
	v_mov_b32_e32 v80, v54
	v_mov_b32_e32 v81, v55
.LBB0_9:
	s_or_b32 exec_lo, exec_lo, s1
	v_subrev_nc_u32_e32 v1, 51, v118
	v_mul_lo_u16 v0, 0xa1, v0
	v_cndmask_b32_e64 v86, v1, v118, s0
	v_lshrrev_b16 v87, 13, v0
	v_mul_i32_i24_e32 v1, 40, v86
	v_mul_hi_i32_i24_e32 v2, 40, v86
	v_mul_lo_u16 v0, v87, 51
	v_add_co_u32 v1, s1, s2, v1
	v_add_co_ci_u32_e64 v2, s1, s3, v2, s1
	v_sub_nc_u16 v0, v84, v0
	s_clause 0x2
	global_load_dwordx4 v[36:39], v[1:2], off offset:272
	global_load_dwordx4 v[28:31], v[1:2], off offset:288
	global_load_dwordx2 v[111:112], v[1:2], off offset:304
	v_mov_b32_e32 v1, 0xa0a1
	v_and_b32_e32 v88, 0xff, v0
	v_mul_u32_u24_sdwa v2, v82, v1 dst_sel:DWORD dst_unused:UNUSED_PAD src0_sel:WORD_0 src1_sel:DWORD
	v_mad_u64_u32 v[0:1], null, v88, 40, s[2:3]
	v_lshrrev_b32_e32 v2, 21, v2
	s_clause 0x1
	global_load_dwordx4 v[40:43], v[0:1], off offset:272
	global_load_dwordx4 v[32:35], v[0:1], off offset:288
	v_mul_lo_u16 v2, v2, 51
	global_load_dwordx2 v[113:114], v[0:1], off offset:304
	v_sub_nc_u16 v120, v82, v2
	v_mul_lo_u16 v0, v120, 40
	v_and_b32_e32 v0, 0xffff, v0
	v_add_co_u32 v54, s1, s2, v0
	v_add_co_ci_u32_e64 v55, null, s3, 0, s1
	s_clause 0x2
	global_load_dwordx4 v[4:7], v[54:55], off offset:272
	global_load_dwordx4 v[0:3], v[54:55], off offset:288
	global_load_dwordx2 v[109:110], v[54:55], off offset:304
	v_mov_b32_e32 v54, 0x132
	v_cmp_lt_u16_e64 s1, 50, v118
	s_waitcnt vmcnt(0) lgkmcnt(0)
	s_barrier
	buffer_gl0_inv
	v_mul_u32_u24_sdwa v54, v87, v54 dst_sel:DWORD dst_unused:UNUSED_PAD src0_sel:WORD_0 src1_sel:DWORD
	v_cndmask_b32_e64 v55, 0, 0x132, s1
	v_add_lshl_u32 v126, v54, v88, 3
	v_add_lshl_u32 v127, v86, v55, 3
	v_mul_f32_e32 v54, v73, v37
	v_mul_f32_e32 v55, v65, v39
	;; [unrolled: 1-line block ×10, first 2 shown]
	v_fma_f32 v72, v72, v36, -v54
	v_fma_f32 v54, v64, v38, -v55
	;; [unrolled: 1-line block ×3, first 2 shown]
	v_fmac_f32_e32 v89, v61, v28
	v_fma_f32 v60, v68, v30, -v90
	v_fma_f32 v61, v76, v111, -v92
	v_fmac_f32_e32 v86, v73, v36
	v_fmac_f32_e32 v87, v65, v38
	;; [unrolled: 1-line block ×4, first 2 shown]
	v_add_f32_e32 v65, v54, v60
	v_add_f32_e32 v77, v55, v61
	;; [unrolled: 1-line block ×3, first 2 shown]
	v_sub_f32_e32 v68, v87, v91
	v_add_f32_e32 v69, v57, v87
	v_add_f32_e32 v73, v87, v91
	;; [unrolled: 1-line block ×3, first 2 shown]
	v_sub_f32_e32 v87, v89, v93
	v_add_f32_e32 v88, v86, v89
	v_add_f32_e32 v89, v89, v93
	v_mul_f32_e32 v90, v75, v41
	v_mul_f32_e32 v92, v74, v41
	;; [unrolled: 1-line block ×9, first 2 shown]
	v_fma_f32 v102, -0.5, v65, v56
	v_fmac_f32_e32 v72, -0.5, v77
	v_sub_f32_e32 v54, v54, v60
	v_sub_f32_e32 v55, v55, v61
	v_mul_f32_e32 v96, v63, v33
	v_add_f32_e32 v60, v64, v60
	v_add_f32_e32 v64, v69, v91
	v_fma_f32 v69, -0.5, v73, v57
	v_add_f32_e32 v56, v76, v61
	v_add_f32_e32 v57, v88, v93
	v_fmac_f32_e32 v86, -0.5, v89
	v_fma_f32 v73, v74, v40, -v90
	v_fmac_f32_e32 v92, v75, v40
	v_fma_f32 v61, v66, v42, -v94
	v_fmac_f32_e32 v95, v67, v42
	v_fmac_f32_e32 v97, v63, v32
	v_fma_f32 v63, v70, v34, -v98
	v_fmac_f32_e32 v99, v71, v34
	v_fma_f32 v65, v78, v113, -v100
	v_fmac_f32_e32 v101, v79, v113
	v_mul_f32_e32 v66, v51, v5
	v_mul_f32_e32 v70, v50, v5
	v_mul_f32_e32 v67, v53, v7
	v_mul_f32_e32 v71, v52, v7
	v_mul_f32_e32 v74, v81, v1
	v_mul_f32_e32 v75, v80, v1
	v_mul_f32_e32 v77, v44, v3
	v_mul_f32_e32 v78, v47, v110
	v_mul_f32_e32 v79, v46, v110
	v_fmamk_f32 v88, v68, 0x3f5db3d7, v102
	v_fmac_f32_e32 v102, 0xbf5db3d7, v68
	v_fmamk_f32 v68, v87, 0x3f5db3d7, v72
	v_fmac_f32_e32 v72, 0xbf5db3d7, v87
	v_fma_f32 v62, v62, v32, -v96
	v_mul_f32_e32 v76, v45, v3
	v_fmamk_f32 v87, v55, 0xbf5db3d7, v86
	v_fmac_f32_e32 v86, 0x3f5db3d7, v55
	v_add_f32_e32 v91, v59, v95
	v_fma_f32 v100, v50, v4, -v66
	v_fmac_f32_e32 v70, v51, v4
	v_fma_f32 v50, v52, v6, -v67
	v_fmac_f32_e32 v71, v53, v6
	;; [unrolled: 2-line block ×3, first 2 shown]
	v_fmac_f32_e32 v77, v45, v2
	v_fma_f32 v45, v46, v109, -v78
	v_fmac_f32_e32 v79, v47, v109
	v_mul_f32_e32 v47, -0.5, v72
	v_mul_f32_e32 v67, 0xbf5db3d7, v68
	v_fmamk_f32 v89, v54, 0xbf5db3d7, v69
	v_fmac_f32_e32 v69, 0x3f5db3d7, v54
	v_add_f32_e32 v54, v60, v56
	v_add_f32_e32 v55, v64, v57
	v_sub_f32_e32 v56, v60, v56
	v_sub_f32_e32 v57, v64, v57
	v_add_f32_e32 v60, v58, v61
	v_add_f32_e32 v64, v61, v63
	v_sub_f32_e32 v90, v95, v99
	v_add_f32_e32 v93, v95, v99
	v_add_f32_e32 v94, v73, v62
	v_add_f32_e32 v95, v62, v65
	v_sub_f32_e32 v96, v97, v101
	v_add_f32_e32 v98, v92, v97
	v_add_f32_e32 v97, v97, v101
	v_fma_f32 v44, v44, v2, -v76
	v_mul_f32_e32 v46, 0x3f5db3d7, v87
	v_mul_f32_e32 v74, -0.5, v86
	v_add_f32_e32 v53, v91, v99
	v_fmac_f32_e32 v47, 0x3f5db3d7, v86
	v_fmac_f32_e32 v67, 0.5, v87
	v_sub_f32_e32 v78, v71, v77
	v_add_f32_e32 v80, v49, v71
	v_add_f32_e32 v71, v71, v77
	;; [unrolled: 1-line block ×3, first 2 shown]
	v_sub_f32_e32 v87, v75, v79
	v_add_f32_e32 v91, v70, v75
	v_add_f32_e32 v75, v75, v79
	v_sub_f32_e32 v61, v61, v63
	v_sub_f32_e32 v62, v62, v65
	v_add_f32_e32 v52, v60, v63
	v_fma_f32 v58, -0.5, v64, v58
	v_fmac_f32_e32 v59, -0.5, v93
	v_add_f32_e32 v63, v94, v65
	v_fmac_f32_e32 v73, -0.5, v95
	v_add_f32_e32 v64, v98, v101
	v_fmac_f32_e32 v92, -0.5, v97
	v_fmac_f32_e32 v46, 0.5, v68
	v_fmac_f32_e32 v74, 0xbf5db3d7, v72
	v_add_f32_e32 v72, v48, v50
	v_add_f32_e32 v76, v50, v44
	v_sub_f32_e32 v81, v50, v44
	v_add_f32_e32 v50, v100, v51
	v_sub_f32_e32 v93, v51, v45
	v_fmac_f32_e32 v49, -0.5, v71
	v_fmac_f32_e32 v100, -0.5, v86
	;; [unrolled: 1-line block ×3, first 2 shown]
	v_fmamk_f32 v94, v90, 0x3f5db3d7, v58
	v_fmac_f32_e32 v58, 0xbf5db3d7, v90
	v_fmamk_f32 v90, v61, 0xbf5db3d7, v59
	v_fmac_f32_e32 v59, 0x3f5db3d7, v61
	;; [unrolled: 2-line block ×4, first 2 shown]
	v_add_f32_e32 v60, v52, v63
	v_add_f32_e32 v61, v53, v64
	v_sub_f32_e32 v62, v52, v63
	v_sub_f32_e32 v63, v53, v64
	v_add_f32_e32 v52, v88, v46
	v_add_f32_e32 v53, v89, v67
	v_fmamk_f32 v51, v81, 0xbf5db3d7, v49
	v_fmac_f32_e32 v49, 0x3f5db3d7, v81
	v_fmamk_f32 v81, v87, 0x3f5db3d7, v100
	v_fmac_f32_e32 v100, 0xbf5db3d7, v87
	;; [unrolled: 2-line block ×3, first 2 shown]
	v_fmac_f32_e32 v48, -0.5, v76
	v_mul_f32_e32 v71, 0x3f5db3d7, v96
	ds_write2_b64 v127, v[54:55], v[52:53] offset1:51
	v_mul_f32_e32 v52, 0x3f5db3d7, v87
	v_mul_f32_e32 v53, -0.5, v100
	v_mul_f32_e32 v54, 0xbf5db3d7, v81
	v_mul_f32_e32 v55, -0.5, v70
	v_sub_f32_e32 v66, v88, v46
	v_add_f32_e32 v46, v80, v77
	v_mul_f32_e32 v80, 0xbf5db3d7, v95
	v_add_f32_e32 v64, v102, v47
	v_sub_f32_e32 v68, v102, v47
	v_add_f32_e32 v47, v91, v79
	v_mul_f32_e32 v79, -0.5, v73
	v_mul_f32_e32 v86, -0.5, v92
	v_add_f32_e32 v44, v72, v44
	v_add_f32_e32 v45, v50, v45
	v_fmamk_f32 v50, v78, 0x3f5db3d7, v48
	v_fmac_f32_e32 v48, 0xbf5db3d7, v78
	v_fmac_f32_e32 v71, 0.5, v95
	v_fmac_f32_e32 v52, 0.5, v81
	v_fmac_f32_e32 v53, 0x3f5db3d7, v70
	v_fmac_f32_e32 v54, 0.5, v87
	v_fmac_f32_e32 v55, 0xbf5db3d7, v100
	;; [unrolled: 2-line block ×3, first 2 shown]
	v_fmac_f32_e32 v86, 0xbf5db3d7, v73
	v_add_f32_e32 v65, v69, v74
	v_sub_f32_e32 v69, v69, v74
	v_sub_f32_e32 v74, v44, v45
	;; [unrolled: 1-line block ×3, first 2 shown]
	v_add_f32_e32 v72, v94, v71
	v_sub_f32_e32 v78, v94, v71
	v_sub_f32_e32 v115, v50, v52
	;; [unrolled: 1-line block ×6, first 2 shown]
	v_add_f32_e32 v73, v90, v80
	v_add_f32_e32 v76, v58, v79
	;; [unrolled: 1-line block ×3, first 2 shown]
	v_sub_f32_e32 v58, v58, v79
	v_sub_f32_e32 v79, v90, v80
	;; [unrolled: 1-line block ×3, first 2 shown]
	ds_write2_b64 v127, v[64:65], v[56:57] offset0:102 offset1:153
	ds_write2_b64 v127, v[66:67], v[68:69] offset0:204 offset1:255
	ds_write2_b64 v126, v[60:61], v[72:73] offset1:51
	ds_write2_b64 v126, v[76:77], v[62:63] offset0:102 offset1:153
	ds_write2_b64 v126, v[78:79], v[58:59] offset0:204 offset1:255
	s_and_saveexec_b32 s1, s0
	s_cbranch_execz .LBB0_11
; %bb.10:
	v_mov_b32_e32 v56, 3
	v_add_f32_e32 v51, v51, v54
	v_add_f32_e32 v46, v46, v47
	;; [unrolled: 1-line block ×4, first 2 shown]
	v_lshlrev_b32_sdwa v54, v56, v120 dst_sel:DWORD dst_unused:UNUSED_PAD src0_sel:DWORD src1_sel:WORD_0
	v_add_f32_e32 v49, v49, v55
	v_add_f32_e32 v48, v48, v53
	v_add_nc_u32_e32 v44, 0x2000, v54
	v_add_nc_u32_e32 v47, 0x2800, v54
	ds_write2_b64 v44, v[45:46], v[50:51] offset0:200 offset1:251
	ds_write2_b64 v47, v[48:49], v[74:75] offset0:46 offset1:97
	;; [unrolled: 1-line block ×3, first 2 shown]
.LBB0_11:
	s_or_b32 exec_lo, exec_lo, s1
	v_lshlrev_b32_e32 v44, 5, v118
	v_lshlrev_b64 v[46:47], 5, v[84:85]
	s_waitcnt lgkmcnt(0)
	s_barrier
	buffer_gl0_inv
	v_add_co_u32 v48, s1, s2, v44
	v_add_co_ci_u32_e64 v49, null, s3, 0, s1
	v_add_nc_u32_e32 v128, 0x400, v119
	v_add_co_u32 v44, s1, 0x908, v48
	v_add_co_ci_u32_e64 v45, s1, 0, v49, s1
	v_add_co_u32 v48, s1, 0x800, v48
	v_add_co_ci_u32_e64 v49, s1, 0, v49, s1
	v_add_co_u32 v56, s1, s2, v46
	v_add_co_ci_u32_e64 v57, s1, s3, v47, s1
	s_clause 0x1
	global_load_dwordx4 v[52:55], v[48:49], off offset:264
	global_load_dwordx4 v[48:51], v[44:45], off offset:16
	v_add_co_u32 v44, s1, 0x908, v56
	v_lshlrev_b64 v[46:47], 5, v[82:83]
	v_add_co_ci_u32_e64 v45, s1, 0, v57, s1
	v_add_co_u32 v56, s1, 0x800, v56
	v_add_co_ci_u32_e64 v57, s1, 0, v57, s1
	v_add_co_u32 v46, s1, s2, v46
	v_add_co_ci_u32_e64 v47, s1, s3, v47, s1
	s_clause 0x1
	global_load_dwordx4 v[64:67], v[56:57], off offset:264
	global_load_dwordx4 v[56:59], v[44:45], off offset:16
	v_add_co_u32 v44, s1, 0x800, v46
	v_add_co_ci_u32_e64 v45, s1, 0, v47, s1
	v_add_co_u32 v46, s1, 0x908, v46
	v_add_co_ci_u32_e64 v47, s1, 0, v47, s1
	s_clause 0x1
	global_load_dwordx4 v[60:63], v[44:45], off offset:264
	global_load_dwordx4 v[44:47], v[46:47], off offset:16
	v_add_nc_u32_e32 v129, 0x1000, v119
	v_add_nc_u32_e32 v130, 0x1800, v119
	;; [unrolled: 1-line block ×5, first 2 shown]
	ds_read2_b64 v[80:83], v128 offset0:76 offset1:178
	ds_read2_b64 v[76:79], v129 offset0:100 offset1:202
	ds_read2_b64 v[88:91], v130 offset0:48 offset1:150
	ds_read2_b64 v[92:95], v131 offset0:72 offset1:174
	ds_read2_b64 v[96:99], v132 offset0:152 offset1:254
	ds_read2_b64 v[100:103], v133 offset0:124 offset1:226
	ds_read2_b64 v[84:87], v119 offset1:102
	ds_read_b64 v[68:69], v119 offset:11424
	s_waitcnt vmcnt(5) lgkmcnt(7)
	v_mul_f32_e32 v72, v83, v53
	v_mul_f32_e32 v73, v82, v53
	s_waitcnt lgkmcnt(6)
	v_mul_f32_e32 v104, v77, v55
	v_mul_f32_e32 v105, v76, v55
	s_waitcnt vmcnt(4) lgkmcnt(5)
	v_mul_f32_e32 v106, v91, v49
	v_mul_f32_e32 v107, v90, v49
	s_waitcnt lgkmcnt(4)
	v_mul_f32_e32 v134, v93, v51
	v_mul_f32_e32 v135, v92, v51
	v_fma_f32 v72, v82, v52, -v72
	v_fmac_f32_e32 v73, v83, v52
	v_fma_f32 v76, v76, v54, -v104
	v_fmac_f32_e32 v105, v77, v54
	v_fma_f32 v77, v90, v48, -v106
	v_fmac_f32_e32 v107, v91, v48
	s_waitcnt vmcnt(3) lgkmcnt(3)
	v_mul_f32_e32 v136, v97, v65
	v_mul_f32_e32 v137, v96, v65
	;; [unrolled: 1-line block ×4, first 2 shown]
	s_waitcnt vmcnt(2) lgkmcnt(2)
	v_mul_f32_e32 v140, v101, v57
	v_mul_f32_e32 v141, v100, v57
	;; [unrolled: 1-line block ×4, first 2 shown]
	v_fma_f32 v82, v92, v50, -v134
	v_fmac_f32_e32 v135, v93, v50
	v_fma_f32 v83, v96, v64, -v136
	s_waitcnt vmcnt(1)
	v_mul_f32_e32 v144, v99, v61
	v_mul_f32_e32 v145, v98, v61
	;; [unrolled: 1-line block ×4, first 2 shown]
	s_waitcnt vmcnt(0)
	v_mul_f32_e32 v148, v103, v45
	v_mul_f32_e32 v149, v102, v45
	s_waitcnt lgkmcnt(0)
	v_mul_f32_e32 v150, v69, v47
	v_mul_f32_e32 v151, v68, v47
	v_fmac_f32_e32 v137, v97, v64
	v_fma_f32 v78, v78, v66, -v138
	v_fmac_f32_e32 v139, v79, v66
	v_fma_f32 v90, v100, v56, -v140
	;; [unrolled: 2-line block ×7, first 2 shown]
	v_fmac_f32_e32 v151, v69, v46
	v_add_f32_e32 v69, v84, v72
	v_add_f32_e32 v92, v76, v77
	v_sub_f32_e32 v94, v73, v135
	v_sub_f32_e32 v93, v72, v76
	;; [unrolled: 1-line block ×3, first 2 shown]
	v_add_f32_e32 v97, v72, v82
	v_sub_f32_e32 v99, v76, v72
	v_sub_f32_e32 v100, v77, v82
	v_add_f32_e32 v101, v85, v73
	v_add_f32_e32 v102, v105, v107
	v_sub_f32_e32 v134, v72, v82
	v_sub_f32_e32 v72, v73, v105
	;; [unrolled: 1-line block ×3, first 2 shown]
	v_add_f32_e32 v104, v73, v135
	v_sub_f32_e32 v73, v105, v73
	v_sub_f32_e32 v106, v107, v135
	v_add_f32_e32 v138, v86, v83
	v_add_f32_e32 v140, v78, v90
	;; [unrolled: 1-line block ×12, first 2 shown]
	v_sub_f32_e32 v95, v105, v107
	v_sub_f32_e32 v136, v76, v77
	v_sub_f32_e32 v142, v137, v143
	v_sub_f32_e32 v144, v139, v141
	v_sub_f32_e32 v146, v83, v78
	v_sub_f32_e32 v152, v78, v83
	v_sub_f32_e32 v83, v83, v91
	v_sub_f32_e32 v156, v78, v90
	v_sub_f32_e32 v163, v145, v151
	v_sub_f32_e32 v164, v147, v149
	v_sub_f32_e32 v165, v79, v88
	v_sub_f32_e32 v168, v88, v79
	v_sub_f32_e32 v172, v79, v68
	v_sub_f32_e32 v173, v88, v89
	v_sub_f32_e32 v79, v145, v147
	v_sub_f32_e32 v174, v151, v149
	v_add_f32_e32 v69, v69, v76
	v_fma_f32 v92, -0.5, v92, v84
	v_add_f32_e32 v177, v93, v96
	v_fma_f32 v98, -0.5, v97, v84
	v_add_f32_e32 v178, v99, v100
	v_add_f32_e32 v76, v101, v105
	v_fma_f32 v93, -0.5, v102, v85
	v_add_f32_e32 v179, v72, v103
	v_fma_f32 v99, -0.5, v104, v85
	v_add_f32_e32 v180, v73, v106
	v_add_f32_e32 v100, v138, v78
	v_fma_f32 v84, -0.5, v140, v86
	v_fma_f32 v86, -0.5, v150, v86
	v_add_f32_e32 v101, v154, v139
	v_fma_f32 v85, -0.5, v155, v87
	v_fmac_f32_e32 v87, -0.5, v159
	v_add_f32_e32 v88, v161, v88
	v_fma_f32 v72, -0.5, v162, v80
	v_fma_f32 v80, -0.5, v167, v80
	v_add_f32_e32 v103, v170, v147
	v_fma_f32 v73, -0.5, v171, v81
	v_fmac_f32_e32 v81, -0.5, v175
	v_sub_f32_e32 v148, v91, v90
	v_sub_f32_e32 v153, v90, v91
	;; [unrolled: 1-line block ×10, first 2 shown]
	v_add_f32_e32 v147, v79, v174
	v_add_f32_e32 v69, v69, v77
	v_fmamk_f32 v78, v94, 0x3f737871, v92
	v_fmac_f32_e32 v92, 0xbf737871, v94
	v_fmamk_f32 v96, v95, 0xbf737871, v98
	v_fmac_f32_e32 v98, 0x3f737871, v95
	v_add_f32_e32 v77, v76, v107
	v_fmamk_f32 v79, v134, 0xbf737871, v93
	v_fmac_f32_e32 v93, 0x3f737871, v134
	v_fmamk_f32 v97, v136, 0x3f737871, v99
	v_fmac_f32_e32 v99, 0xbf737871, v136
	;; [unrolled: 5-line block ×6, first 2 shown]
	v_add_f32_e32 v138, v146, v148
	v_add_f32_e32 v140, v152, v153
	;; [unrolled: 1-line block ×7, first 2 shown]
	v_fmac_f32_e32 v78, 0x3f167918, v95
	v_fmac_f32_e32 v92, 0xbf167918, v95
	;; [unrolled: 1-line block ×24, first 2 shown]
	v_add_f32_e32 v76, v69, v82
	v_add_f32_e32 v77, v77, v135
	;; [unrolled: 1-line block ×6, first 2 shown]
	v_fmac_f32_e32 v78, 0x3e9e377a, v177
	v_fmac_f32_e32 v92, 0x3e9e377a, v177
	;; [unrolled: 1-line block ×24, first 2 shown]
	ds_write2_b64 v119, v[76:77], v[94:95] offset1:102
	ds_write2_b64 v128, v[100:101], v[78:79] offset0:76 offset1:178
	ds_write2_b64 v129, v[96:97], v[106:107] offset0:100 offset1:202
	;; [unrolled: 1-line block ×6, first 2 shown]
	ds_write_b64 v119, v[72:73] offset:11424
	s_waitcnt lgkmcnt(0)
	s_barrier
	buffer_gl0_inv
	s_and_saveexec_b32 s2, vcc_lo
	s_cbranch_execz .LBB0_13
; %bb.12:
	v_add_co_u32 v134, s1, s12, v117
	v_add_co_ci_u32_e64 v135, null, s13, 0, s1
	v_add_nc_u32_e32 v188, 0x800, v117
	v_add_co_u32 v68, s1, 0x2800, v134
	v_add_co_ci_u32_e64 v69, s1, 0, v135, s1
	v_add_co_u32 v82, s1, 0x2fd0, v134
	v_add_co_ci_u32_e64 v83, s1, 0, v135, s1
	global_load_dwordx2 v[68:69], v[68:69], off offset:2000
	v_add_co_u32 v90, s1, 0x3800, v134
	v_add_co_ci_u32_e64 v91, s1, 0, v135, s1
	v_add_co_u32 v128, s1, 0x4000, v134
	v_add_co_ci_u32_e64 v129, s1, 0, v135, s1
	;; [unrolled: 2-line block ×4, first 2 shown]
	s_clause 0xb
	global_load_dwordx2 v[160:161], v[82:83], off offset:720
	global_load_dwordx2 v[162:163], v[90:91], off offset:64
	;; [unrolled: 1-line block ×12, first 2 shown]
	v_add_co_u32 v128, s1, 0x5800, v134
	v_add_co_ci_u32_e64 v129, s1, 0, v135, s1
	s_clause 0x3
	global_load_dwordx2 v[180:181], v[132:133], off offset:1120
	global_load_dwordx2 v[182:183], v[132:133], off offset:1840
	;; [unrolled: 1-line block ×4, first 2 shown]
	ds_read_b64 v[128:129], v119
	v_add_nc_u32_e32 v189, 0xc00, v117
	v_add_nc_u32_e32 v190, 0x1000, v117
	;; [unrolled: 1-line block ×6, first 2 shown]
	s_waitcnt vmcnt(16) lgkmcnt(0)
	v_mul_f32_e32 v130, v129, v69
	v_mul_f32_e32 v131, v128, v69
	v_fma_f32 v130, v128, v68, -v130
	v_fmac_f32_e32 v131, v129, v68
	ds_write_b64 v119, v[130:131]
	ds_read2_b64 v[128:131], v117 offset0:90 offset1:180
	ds_read2_b64 v[132:135], v188 offset0:14 offset1:104
	;; [unrolled: 1-line block ×8, first 2 shown]
	s_waitcnt vmcnt(15) lgkmcnt(7)
	v_mul_f32_e32 v68, v129, v161
	v_mul_f32_e32 v69, v128, v161
	s_waitcnt vmcnt(13)
	v_mul_f32_e32 v195, v131, v83
	v_mul_f32_e32 v161, v130, v83
	s_waitcnt lgkmcnt(6)
	v_mul_f32_e32 v196, v133, v163
	v_mul_f32_e32 v83, v132, v163
	s_waitcnt vmcnt(12)
	v_mul_f32_e32 v197, v135, v165
	v_mul_f32_e32 v163, v134, v165
	s_waitcnt vmcnt(11) lgkmcnt(5)
	v_mul_f32_e32 v198, v137, v91
	v_mul_f32_e32 v165, v136, v91
	s_waitcnt vmcnt(10)
	v_mul_f32_e32 v199, v139, v167
	v_mul_f32_e32 v91, v138, v167
	s_waitcnt vmcnt(9) lgkmcnt(4)
	;; [unrolled: 6-line block ×6, first 2 shown]
	v_mul_f32_e32 v208, v157, v185
	v_mul_f32_e32 v183, v156, v185
	s_waitcnt vmcnt(0)
	v_mul_f32_e32 v209, v159, v187
	v_mul_f32_e32 v185, v158, v187
	v_fma_f32 v68, v128, v160, -v68
	v_fmac_f32_e32 v69, v129, v160
	v_fma_f32 v160, v130, v82, -v195
	v_fmac_f32_e32 v161, v131, v82
	;; [unrolled: 2-line block ×16, first 2 shown]
	ds_write2_b64 v117, v[68:69], v[160:161] offset0:90 offset1:180
	ds_write2_b64 v188, v[82:83], v[162:163] offset0:14 offset1:104
	;; [unrolled: 1-line block ×8, first 2 shown]
.LBB0_13:
	s_or_b32 exec_lo, exec_lo, s2
	s_waitcnt lgkmcnt(0)
	s_barrier
	buffer_gl0_inv
	s_and_saveexec_b32 s1, vcc_lo
	s_cbranch_execz .LBB0_15
; %bb.14:
	v_add_nc_u32_e32 v68, 0x400, v119
	v_add_nc_u32_e32 v69, 0x2000, v119
	;; [unrolled: 1-line block ×4, first 2 shown]
	ds_read2_b64 v[76:79], v119 offset1:90
	ds_read2_b64 v[96:99], v68 offset0:52 offset1:142
	v_add_nc_u32_e32 v68, 0x1000, v119
	ds_read2_b64 v[88:91], v69 offset0:56 offset1:146
	v_add_nc_u32_e32 v69, 0x1800, v119
	;; [unrolled: 2-line block ×3, first 2 shown]
	ds_read2_b64 v[92:95], v72 offset0:104 offset1:194
	ds_read2_b64 v[104:107], v68 offset0:28 offset1:118
	;; [unrolled: 1-line block ×3, first 2 shown]
	ds_read_b64 v[115:116], v119 offset:11520
	ds_read2_b64 v[72:75], v73 offset0:108 offset1:198
	s_waitcnt lgkmcnt(6)
	v_mov_b32_e32 v80, v90
	v_mov_b32_e32 v81, v91
	s_waitcnt lgkmcnt(5)
	v_mov_b32_e32 v86, v82
	v_mov_b32_e32 v87, v83
.LBB0_15:
	s_or_b32 exec_lo, exec_lo, s1
	s_waitcnt lgkmcnt(1)
	v_sub_f32_e32 v183, v79, v116
	v_add_f32_e32 v185, v116, v79
	v_add_f32_e32 v182, v115, v78
	v_sub_f32_e32 v184, v78, v115
	s_waitcnt lgkmcnt(0)
	v_add_f32_e32 v150, v75, v97
	v_mul_f32_e32 v186, 0xbeb8f4ab, v183
	v_mul_f32_e32 v187, 0x3f6eb680, v185
	v_sub_f32_e32 v148, v97, v75
	v_add_f32_e32 v82, v74, v96
	v_mul_f32_e32 v188, 0xbf2c7751, v183
	v_fma_f32 v68, 0x3f6eb680, v182, -v186
	v_fmamk_f32 v69, v184, 0xbeb8f4ab, v187
	v_mul_f32_e32 v189, 0x3f3d2fb0, v185
	v_mul_f32_e32 v140, 0xbf2c7751, v148
	v_sub_f32_e32 v83, v96, v74
	v_mul_f32_e32 v141, 0x3f3d2fb0, v150
	v_add_f32_e32 v68, v76, v68
	v_add_f32_e32 v69, v77, v69
	v_fma_f32 v90, 0x3f3d2fb0, v182, -v188
	v_fmamk_f32 v91, v184, 0xbf2c7751, v189
	v_fma_f32 v128, 0x3f3d2fb0, v82, -v140
	v_sub_f32_e32 v154, v99, v73
	v_fmamk_f32 v129, v83, 0xbf2c7751, v141
	v_mul_f32_e32 v146, 0xbf7ee86f, v148
	v_mul_f32_e32 v149, 0x3dbcf732, v150
	v_add_f32_e32 v159, v73, v99
	v_add_f32_e32 v90, v76, v90
	;; [unrolled: 1-line block ×5, first 2 shown]
	v_mul_f32_e32 v142, 0xbf65296c, v154
	v_add_f32_e32 v69, v129, v69
	v_fma_f32 v130, 0x3dbcf732, v82, -v146
	v_fmamk_f32 v131, v83, 0xbf7ee86f, v149
	v_sub_f32_e32 v129, v98, v72
	v_mul_f32_e32 v143, 0x3ee437d1, v159
	v_sub_f32_e32 v160, v93, v81
	v_fma_f32 v132, 0x3ee437d1, v128, -v142
	v_add_f32_e32 v90, v130, v90
	v_add_f32_e32 v91, v131, v91
	v_fmamk_f32 v131, v129, 0xbf65296c, v143
	v_mul_f32_e32 v152, 0xbf4c4adb, v154
	v_mul_f32_e32 v155, 0xbf1a4643, v159
	v_add_f32_e32 v130, v80, v92
	v_mul_f32_e32 v144, 0xbf7ee86f, v160
	v_add_f32_e32 v166, v81, v93
	v_add_f32_e32 v68, v132, v68
	;; [unrolled: 1-line block ×3, first 2 shown]
	v_fma_f32 v132, 0xbf1a4643, v128, -v152
	v_fmamk_f32 v133, v129, 0xbf4c4adb, v155
	v_fma_f32 v134, 0x3dbcf732, v130, -v144
	v_sub_f32_e32 v131, v92, v80
	v_mul_f32_e32 v145, 0x3dbcf732, v166
	v_sub_f32_e32 v167, v95, v89
	v_mul_f32_e32 v157, 0xbe3c28d5, v160
	v_mul_f32_e32 v162, 0xbf7ba420, v166
	v_add_f32_e32 v171, v89, v95
	v_add_f32_e32 v90, v132, v90
	;; [unrolled: 1-line block ×4, first 2 shown]
	v_fmamk_f32 v134, v131, 0xbf7ee86f, v145
	v_add_f32_e32 v132, v88, v94
	v_mul_f32_e32 v147, 0xbf763a35, v167
	v_fma_f32 v135, 0xbf7ba420, v130, -v157
	v_fmamk_f32 v136, v131, 0xbe3c28d5, v162
	v_sub_f32_e32 v133, v94, v88
	v_mul_f32_e32 v151, 0xbe8c1d8e, v171
	v_add_f32_e32 v176, v103, v105
	v_fma_f32 v137, 0xbe8c1d8e, v132, -v147
	v_add_f32_e32 v69, v134, v69
	v_add_f32_e32 v90, v135, v90
	;; [unrolled: 1-line block ×3, first 2 shown]
	v_fmamk_f32 v136, v133, 0xbf763a35, v151
	v_sub_f32_e32 v173, v105, v103
	v_mul_f32_e32 v163, 0x3f06c442, v167
	v_mul_f32_e32 v169, 0xbf59a7d5, v171
	v_sub_f32_e32 v135, v104, v102
	v_mul_f32_e32 v156, 0xbf1a4643, v176
	v_add_f32_e32 v68, v137, v68
	v_add_f32_e32 v134, v102, v104
	v_mul_f32_e32 v153, 0xbf4c4adb, v173
	v_fma_f32 v137, 0xbf59a7d5, v132, -v163
	v_fmamk_f32 v138, v133, 0x3f06c442, v169
	v_add_f32_e32 v69, v136, v69
	v_fmamk_f32 v136, v135, 0xbf4c4adb, v156
	v_mul_f32_e32 v168, 0x3f763a35, v173
	v_sub_f32_e32 v178, v107, v101
	v_add_f32_e32 v179, v101, v107
	v_fma_f32 v139, 0xbf1a4643, v134, -v153
	v_add_f32_e32 v90, v137, v90
	v_add_f32_e32 v91, v138, v91
	;; [unrolled: 1-line block ×3, first 2 shown]
	v_mul_f32_e32 v172, 0xbe8c1d8e, v176
	v_fma_f32 v138, 0xbe8c1d8e, v134, -v168
	v_add_f32_e32 v136, v100, v106
	v_mul_f32_e32 v158, 0xbf06c442, v178
	v_sub_f32_e32 v137, v106, v100
	v_mul_f32_e32 v161, 0xbf59a7d5, v179
	v_mul_f32_e32 v170, 0x3f65296c, v178
	v_add_f32_e32 v68, v139, v68
	v_fmamk_f32 v139, v135, 0x3f763a35, v172
	v_fma_f32 v164, 0xbf59a7d5, v136, -v158
	v_add_f32_e32 v90, v138, v90
	v_fmamk_f32 v138, v137, 0xbf06c442, v161
	v_fma_f32 v165, 0x3ee437d1, v136, -v170
	v_mul_f32_e32 v174, 0x3ee437d1, v179
	v_sub_f32_e32 v180, v87, v85
	v_add_f32_e32 v181, v85, v87
	v_add_f32_e32 v91, v139, v91
	;; [unrolled: 1-line block ×5, first 2 shown]
	v_fmamk_f32 v190, v137, 0x3f65296c, v174
	v_add_f32_e32 v138, v84, v86
	v_sub_f32_e32 v139, v86, v84
	v_mul_f32_e32 v164, 0xbe3c28d5, v180
	v_mul_f32_e32 v165, 0xbf7ba420, v181
	v_mul_f32_e32 v175, 0x3eb8f4ab, v180
	v_mul_f32_e32 v177, 0x3f6eb680, v181
	v_add_f32_e32 v91, v190, v91
	v_fma_f32 v190, 0xbf7ba420, v138, -v164
	v_fmamk_f32 v191, v139, 0xbe3c28d5, v165
	v_fma_f32 v192, 0x3f6eb680, v138, -v175
	v_fmamk_f32 v193, v139, 0x3eb8f4ab, v177
	v_add_f32_e32 v68, v190, v68
	v_add_f32_e32 v69, v191, v69
	;; [unrolled: 1-line block ×4, first 2 shown]
	s_barrier
	buffer_gl0_inv
	s_and_saveexec_b32 s1, vcc_lo
	s_cbranch_execz .LBB0_17
; %bb.16:
	v_add_f32_e32 v78, v78, v76
	v_add_f32_e32 v79, v79, v77
	v_mul_f32_e32 v195, 0xbe8c1d8e, v179
	v_mul_f32_e32 v196, 0x3eb8f4ab, v148
	v_mul_f32_e32 v197, 0x3f2c7751, v160
	v_add_f32_e32 v78, v96, v78
	v_add_f32_e32 v79, v97, v79
	v_mul_f32_e32 v96, 0xbe3c28d5, v183
	v_mul_f32_e32 v97, 0xbf06c442, v183
	v_mul_f32_e32 v198, 0xbf4c4adb, v167
	;; [unrolled: 5-line block ×5, first 2 shown]
	v_add_f32_e32 v78, v104, v78
	v_add_f32_e32 v79, v105, v79
	v_fmamk_f32 v105, v182, 0xbe8c1d8e, v99
	v_fma_f32 v99, 0xbe8c1d8e, v182, -v99
	v_fmamk_f32 v104, v182, 0xbf1a4643, v98
	v_add_f32_e32 v78, v106, v78
	v_add_f32_e32 v79, v107, v79
	v_fma_f32 v98, 0xbf1a4643, v182, -v98
	v_add_f32_e32 v190, v76, v99
	v_mul_f32_e32 v99, 0x3f6eb680, v150
	v_add_f32_e32 v78, v86, v78
	v_add_f32_e32 v79, v87, v79
	v_mul_f32_e32 v86, 0x3dbcf732, v185
	v_mul_f32_e32 v87, 0x3ee437d1, v185
	v_add_f32_e32 v104, v76, v104
	v_add_f32_e32 v78, v84, v78
	v_add_f32_e32 v79, v85, v79
	v_mul_f32_e32 v84, 0xbf1a4643, v185
	v_mul_f32_e32 v85, 0xbe8c1d8e, v185
	v_add_f32_e32 v105, v76, v105
	;; [unrolled: 5-line block ×3, first 2 shown]
	v_add_f32_e32 v78, v102, v78
	v_add_f32_e32 v79, v103, v79
	v_fmamk_f32 v106, v182, 0x3dbcf732, v100
	v_fma_f32 v100, 0x3dbcf732, v182, -v100
	v_fmamk_f32 v102, v182, 0xbf7ba420, v96
	v_add_f32_e32 v78, v88, v78
	v_add_f32_e32 v79, v89, v79
	v_fma_f32 v96, 0xbf7ba420, v182, -v96
	v_fmamk_f32 v103, v182, 0xbf59a7d5, v97
	v_fma_f32 v97, 0xbf59a7d5, v182, -v97
	v_add_f32_e32 v78, v80, v78
	v_add_f32_e32 v79, v81, v79
	v_mul_f32_e32 v80, 0xbf7ba420, v185
	v_fmamk_f32 v107, v182, 0x3ee437d1, v101
	v_fma_f32 v101, 0x3ee437d1, v182, -v101
	v_add_f32_e32 v72, v72, v78
	v_add_f32_e32 v73, v73, v79
	v_fmamk_f32 v88, v184, 0x3e3c28d5, v80
	v_mul_f32_e32 v79, 0x3f6eb680, v182
	v_add_f32_e32 v192, v76, v100
	v_add_f32_e32 v72, v74, v72
	v_mul_f32_e32 v74, 0xbf2c7751, v184
	v_add_f32_e32 v73, v75, v73
	v_mul_f32_e32 v75, 0x3f3d2fb0, v182
	;; [unrolled: 2-line block ×3, first 2 shown]
	v_sub_f32_e32 v74, v189, v74
	v_add_f32_e32 v194, v76, v101
	v_add_f32_e32 v75, v75, v188
	v_mul_f32_e32 v101, 0x3f3d2fb0, v166
	v_add_f32_e32 v72, v115, v72
	v_add_f32_e32 v182, v77, v74
	v_fmamk_f32 v74, v83, 0xbeb8f4ab, v99
	v_add_f32_e32 v183, v76, v75
	v_fmamk_f32 v75, v129, 0x3f06c442, v100
	v_mul_f32_e32 v115, 0xbf1a4643, v171
	v_add_f32_e32 v73, v116, v73
	v_add_f32_e32 v74, v74, v88
	v_mul_f32_e32 v116, 0x3ee437d1, v176
	v_add_f32_e32 v102, v76, v102
	v_add_f32_e32 v79, v79, v186
	v_mul_f32_e32 v81, 0xbf59a7d5, v185
	v_add_f32_e32 v74, v75, v74
	v_fmamk_f32 v75, v131, 0xbf2c7751, v101
	v_add_f32_e32 v103, v76, v103
	v_add_f32_e32 v106, v76, v106
	;; [unrolled: 1-line block ×5, first 2 shown]
	v_fmamk_f32 v75, v133, 0x3f4c4adb, v115
	v_add_f32_e32 v96, v76, v96
	v_add_f32_e32 v97, v76, v97
	v_mul_f32_e32 v78, 0xbeb8f4ab, v184
	v_fmamk_f32 v89, v184, 0x3f06c442, v81
	v_add_f32_e32 v74, v75, v74
	v_fmamk_f32 v75, v135, 0xbf65296c, v116
	v_fmac_f32_e32 v80, 0xbe3c28d5, v184
	v_sub_f32_e32 v78, v187, v78
	v_fmac_f32_e32 v81, 0xbf06c442, v184
	v_fmamk_f32 v92, v184, 0x3f4c4adb, v84
	v_add_f32_e32 v74, v75, v74
	v_fmamk_f32 v75, v137, 0x3f763a35, v195
	v_fmac_f32_e32 v84, 0xbf4c4adb, v184
	v_fmamk_f32 v93, v184, 0x3f763a35, v85
	v_fmac_f32_e32 v85, 0xbf763a35, v184
	v_fmamk_f32 v94, v184, 0x3f7ee86f, v86
	v_add_f32_e32 v74, v75, v74
	v_fmamk_f32 v75, v82, 0x3f6eb680, v196
	v_fmac_f32_e32 v86, 0xbf7ee86f, v184
	v_fmamk_f32 v95, v184, 0x3f65296c, v87
	v_fmac_f32_e32 v87, 0xbf65296c, v184
	v_add_f32_e32 v89, v77, v89
	v_add_f32_e32 v75, v75, v102
	v_mul_f32_e32 v102, 0xbf06c442, v154
	v_add_f32_e32 v92, v77, v92
	v_add_f32_e32 v93, v77, v93
	;; [unrolled: 1-line block ×4, first 2 shown]
	v_fmamk_f32 v76, v128, 0xbf59a7d5, v102
	v_add_f32_e32 v184, v77, v78
	v_add_f32_e32 v186, v77, v80
	;; [unrolled: 1-line block ×5, first 2 shown]
	v_fmamk_f32 v76, v130, 0x3f3d2fb0, v197
	v_add_f32_e32 v189, v77, v85
	v_add_f32_e32 v191, v77, v86
	v_add_f32_e32 v193, v77, v87
	v_fmamk_f32 v77, v129, 0x3f7ee86f, v204
	v_add_f32_e32 v75, v76, v75
	v_fmamk_f32 v76, v132, 0xbf1a4643, v198
	v_mul_f32_e32 v206, 0x3f6eb680, v171
	v_mul_f32_e32 v207, 0xbf7ba420, v176
	v_mul_f32_e32 v208, 0x3f3d2fb0, v179
	v_mul_f32_e32 v209, 0x3f65296c, v148
	v_add_f32_e32 v75, v76, v75
	v_fmamk_f32 v76, v134, 0x3ee437d1, v199
	v_mul_f32_e32 v210, 0x3f4c4adb, v160
	v_mul_f32_e32 v211, 0xbeb8f4ab, v167
	v_mul_f32_e32 v212, 0xbe3c28d5, v173
	v_mul_f32_e32 v213, 0x3f2c7751, v178
	;; [unrolled: 6-line block ×3, first 2 shown]
	v_add_f32_e32 v76, v76, v75
	v_fmamk_f32 v75, v139, 0xbf7ee86f, v201
	v_mul_f32_e32 v218, 0xbf59a7d5, v166
	v_mul_f32_e32 v219, 0x3dbcf732, v171
	v_fmamk_f32 v79, v129, 0x3eb8f4ab, v217
	v_mul_f32_e32 v220, 0x3f3d2fb0, v176
	v_add_f32_e32 v75, v75, v74
	v_fmamk_f32 v74, v138, 0x3dbcf732, v202
	v_mul_f32_e32 v221, 0xbf7ba420, v179
	v_mul_f32_e32 v222, 0x3f763a35, v148
	;; [unrolled: 1-line block ×4, first 2 shown]
	v_add_f32_e32 v74, v74, v76
	v_fmamk_f32 v76, v83, 0xbf65296c, v203
	v_mul_f32_e32 v225, 0xbf2c7751, v173
	v_mul_f32_e32 v226, 0xbe3c28d5, v178
	;; [unrolled: 1-line block ×4, first 2 shown]
	v_add_f32_e32 v76, v76, v89
	v_mul_f32_e32 v229, 0xbf59a7d5, v150
	v_mul_f32_e32 v230, 0x3f3d2fb0, v159
	;; [unrolled: 1-line block ×4, first 2 shown]
	v_add_f32_e32 v76, v77, v76
	v_fmamk_f32 v77, v131, 0xbf4c4adb, v205
	v_fmamk_f32 v81, v129, 0xbf2c7751, v230
	v_mul_f32_e32 v233, 0x3dbcf732, v176
	v_mul_f32_e32 v234, 0x3f6eb680, v179
	v_mul_f32_e32 v235, 0x3f06c442, v148
	v_add_f32_e32 v76, v77, v76
	v_fmamk_f32 v77, v133, 0x3eb8f4ab, v206
	v_mul_f32_e32 v236, 0xbf65296c, v160
	v_mul_f32_e32 v237, 0xbe3c28d5, v167
	v_mul_f32_e32 v238, 0x3f7ee86f, v173
	v_mul_f32_e32 v239, 0xbeb8f4ab, v178
	v_add_f32_e32 v76, v77, v76
	v_fmamk_f32 v77, v135, 0x3e3c28d5, v207
	v_mul_f32_e32 v240, 0xbf1a4643, v181
	;; [unrolled: 6-line block ×3, first 2 shown]
	v_mul_f32_e32 v245, 0x3ee437d1, v171
	v_fmamk_f32 v85, v129, 0xbf763a35, v243
	v_mul_f32_e32 v246, 0xbf59a7d5, v176
	v_add_f32_e32 v76, v77, v76
	v_fmamk_f32 v77, v82, 0x3ee437d1, v209
	v_mul_f32_e32 v247, 0xbf1a4643, v179
	v_mul_f32_e32 v248, 0xbe3c28d5, v148
	;; [unrolled: 1-line block ×4, first 2 shown]
	v_add_f32_e32 v77, v77, v103
	v_mul_f32_e32 v103, 0xbf7ee86f, v154
	v_mul_f32_e32 v251, 0xbf06c442, v173
	;; [unrolled: 1-line block ×5, first 2 shown]
	v_fmamk_f32 v78, v128, 0x3dbcf732, v103
	v_mul_f32_e32 v150, 0xbf1a4643, v150
	v_mul_f32_e32 v159, 0xbf7ba420, v159
	;; [unrolled: 1-line block ×4, first 2 shown]
	v_add_f32_e32 v77, v78, v77
	v_fmamk_f32 v78, v130, 0xbf1a4643, v210
	v_fmamk_f32 v87, v129, 0xbe3c28d5, v159
	v_mul_f32_e32 v176, 0x3f6eb680, v176
	v_mul_f32_e32 v179, 0x3dbcf732, v179
	v_mul_f32_e32 v148, 0xbf4c4adb, v148
	v_add_f32_e32 v77, v78, v77
	v_fmamk_f32 v78, v132, 0x3f6eb680, v211
	v_mul_f32_e32 v180, 0xbf06c442, v180
	v_mul_f32_e32 v89, 0xbf4c4adb, v129
	v_fmac_f32_e32 v99, 0x3eb8f4ab, v83
	v_fmac_f32_e32 v100, 0xbf06c442, v129
	v_add_f32_e32 v77, v78, v77
	v_fmamk_f32 v78, v134, 0xbf7ba420, v212
	v_sub_f32_e32 v89, v155, v89
	v_fmac_f32_e32 v101, 0x3f2c7751, v131
	v_fmac_f32_e32 v115, 0xbf4c4adb, v133
	v_fmac_f32_e32 v116, 0x3f65296c, v135
	v_add_f32_e32 v77, v78, v77
	v_fmamk_f32 v78, v136, 0x3f3d2fb0, v213
	v_fmac_f32_e32 v195, 0xbf763a35, v137
	v_fmac_f32_e32 v201, 0x3f7ee86f, v139
	v_fmac_f32_e32 v203, 0x3f65296c, v83
	v_fmac_f32_e32 v204, 0xbf7ee86f, v129
	v_add_f32_e32 v78, v78, v77
	v_fmamk_f32 v77, v139, 0x3f763a35, v214
	v_fmac_f32_e32 v205, 0x3f4c4adb, v131
	;; [unrolled: 6-line block ×4, first 2 shown]
	v_fmac_f32_e32 v159, 0x3e3c28d5, v129
	v_add_f32_e32 v78, v78, v92
	v_mul_f32_e32 v92, 0x3dbcf732, v82
	v_add_f32_e32 v78, v79, v78
	v_fmamk_f32 v79, v131, 0x3f06c442, v218
	v_add_f32_e32 v92, v92, v146
	v_fmac_f32_e32 v218, 0xbf06c442, v131
	v_add_f32_e32 v78, v79, v78
	v_fmamk_f32 v79, v133, 0xbf7ee86f, v219
	v_add_f32_e32 v92, v92, v183
	v_fmac_f32_e32 v219, 0x3f7ee86f, v133
	v_add_f32_e32 v78, v79, v78
	v_fmamk_f32 v79, v135, 0x3f2c7751, v220
	v_fmac_f32_e32 v220, 0xbf2c7751, v135
	v_add_f32_e32 v78, v79, v78
	v_fmamk_f32 v79, v137, 0x3e3c28d5, v221
	;; [unrolled: 3-line block ×3, first 2 shown]
	v_add_f32_e32 v79, v79, v104
	v_mul_f32_e32 v104, 0xbeb8f4ab, v154
	v_fmamk_f32 v80, v128, 0x3f6eb680, v104
	v_add_f32_e32 v79, v80, v79
	v_fmamk_f32 v80, v130, 0xbf59a7d5, v223
	v_add_f32_e32 v79, v80, v79
	;; [unrolled: 2-line block ×5, first 2 shown]
	v_fmamk_f32 v79, v139, 0xbf65296c, v227
	v_fmac_f32_e32 v227, 0x3f65296c, v139
	v_add_f32_e32 v79, v79, v78
	v_fmamk_f32 v78, v138, 0x3ee437d1, v228
	v_add_f32_e32 v78, v78, v80
	v_fmamk_f32 v80, v83, 0xbf06c442, v229
	v_fmac_f32_e32 v229, 0x3f06c442, v83
	v_add_f32_e32 v80, v80, v93
	v_mul_f32_e32 v93, 0xbf1a4643, v128
	v_add_f32_e32 v80, v81, v80
	v_fmamk_f32 v81, v131, 0x3f65296c, v231
	v_add_f32_e32 v93, v93, v152
	v_fmac_f32_e32 v231, 0xbf65296c, v131
	v_add_f32_e32 v80, v81, v80
	v_fmamk_f32 v81, v133, 0x3e3c28d5, v232
	v_add_f32_e32 v92, v93, v92
	v_mul_f32_e32 v93, 0xbf7ba420, v130
	v_fmac_f32_e32 v232, 0xbe3c28d5, v133
	v_add_f32_e32 v80, v81, v80
	v_fmamk_f32 v81, v135, 0xbf7ee86f, v233
	v_add_f32_e32 v93, v93, v157
	v_fmac_f32_e32 v233, 0x3f7ee86f, v135
	v_add_f32_e32 v80, v81, v80
	v_fmamk_f32 v81, v137, 0x3eb8f4ab, v234
	v_fmac_f32_e32 v234, 0xbeb8f4ab, v137
	v_add_f32_e32 v80, v81, v80
	v_fmamk_f32 v81, v82, 0xbf59a7d5, v235
	v_add_f32_e32 v81, v81, v105
	v_mul_f32_e32 v105, 0x3f2c7751, v154
	v_fmamk_f32 v84, v128, 0x3f3d2fb0, v105
	v_add_f32_e32 v81, v84, v81
	v_fmamk_f32 v84, v130, 0x3ee437d1, v236
	v_add_f32_e32 v81, v84, v81
	;; [unrolled: 2-line block ×5, first 2 shown]
	v_fmamk_f32 v81, v139, 0x3f4c4adb, v240
	v_fmac_f32_e32 v240, 0xbf4c4adb, v139
	v_add_f32_e32 v81, v81, v80
	v_fmamk_f32 v80, v138, 0xbf1a4643, v241
	v_add_f32_e32 v80, v80, v84
	v_fmamk_f32 v84, v83, 0x3e3c28d5, v242
	v_fmac_f32_e32 v242, 0xbe3c28d5, v83
	v_add_f32_e32 v84, v84, v94
	v_add_f32_e32 v84, v85, v84
	v_fmamk_f32 v85, v131, 0xbeb8f4ab, v244
	v_fmac_f32_e32 v244, 0x3eb8f4ab, v131
	v_add_f32_e32 v84, v85, v84
	v_fmamk_f32 v85, v133, 0x3f65296c, v245
	v_fmac_f32_e32 v245, 0xbf65296c, v133
	;; [unrolled: 3-line block ×4, first 2 shown]
	v_add_f32_e32 v84, v85, v84
	v_fmamk_f32 v85, v82, 0xbf7ba420, v248
	v_add_f32_e32 v85, v85, v106
	v_mul_f32_e32 v106, 0x3f763a35, v154
	v_fmamk_f32 v86, v128, 0xbe8c1d8e, v106
	v_add_f32_e32 v85, v86, v85
	v_fmamk_f32 v86, v130, 0x3f6eb680, v249
	v_add_f32_e32 v85, v86, v85
	;; [unrolled: 2-line block ×5, first 2 shown]
	v_fmamk_f32 v85, v139, 0xbf2c7751, v253
	v_fmac_f32_e32 v253, 0x3f2c7751, v139
	v_add_f32_e32 v85, v85, v84
	v_fmamk_f32 v84, v138, 0x3f3d2fb0, v254
	v_add_f32_e32 v84, v84, v86
	v_fmamk_f32 v86, v83, 0x3f4c4adb, v150
	v_fmac_f32_e32 v150, 0xbf4c4adb, v83
	v_add_f32_e32 v86, v86, v95
	v_mul_f32_e32 v95, 0x3ee437d1, v128
	v_add_f32_e32 v86, v87, v86
	v_fmamk_f32 v87, v131, 0xbf763a35, v166
	v_add_f32_e32 v95, v95, v142
	v_fmac_f32_e32 v166, 0x3f763a35, v131
	v_add_f32_e32 v86, v87, v86
	v_fmamk_f32 v87, v133, 0xbf2c7751, v171
	v_fmac_f32_e32 v171, 0x3f2c7751, v133
	v_add_f32_e32 v86, v87, v86
	v_fmamk_f32 v87, v135, 0x3eb8f4ab, v176
	v_fmac_f32_e32 v176, 0xbeb8f4ab, v135
	v_add_f32_e32 v86, v87, v86
	v_fmamk_f32 v87, v137, 0x3f7ee86f, v179
	v_fmac_f32_e32 v179, 0xbf7ee86f, v137
	v_add_f32_e32 v86, v87, v86
	v_fmamk_f32 v87, v82, 0xbf1a4643, v148
	v_add_f32_e32 v87, v87, v107
	v_mul_f32_e32 v107, 0x3e3c28d5, v154
	v_mul_f32_e32 v154, 0x3f763a35, v160
	;; [unrolled: 1-line block ×5, first 2 shown]
	v_fmamk_f32 v88, v128, 0xbf7ba420, v107
	v_mul_f32_e32 v178, 0xbf59a7d5, v181
	v_add_f32_e32 v87, v88, v87
	v_fmamk_f32 v88, v130, 0xbe8c1d8e, v154
	v_add_f32_e32 v87, v88, v87
	v_fmamk_f32 v88, v132, 0x3f3d2fb0, v160
	;; [unrolled: 2-line block ×5, first 2 shown]
	v_fmac_f32_e32 v178, 0xbf06c442, v139
	v_add_f32_e32 v87, v87, v86
	v_fmamk_f32 v86, v138, 0xbf59a7d5, v180
	v_add_f32_e32 v86, v86, v88
	v_mul_f32_e32 v88, 0xbf7ee86f, v83
	v_sub_f32_e32 v88, v149, v88
	v_add_f32_e32 v88, v88, v182
	v_add_f32_e32 v88, v89, v88
	v_mul_f32_e32 v89, 0xbe3c28d5, v131
	v_sub_f32_e32 v89, v162, v89
	v_add_f32_e32 v88, v89, v88
	v_mul_f32_e32 v89, 0x3f06c442, v133
	v_sub_f32_e32 v89, v169, v89
	;; [unrolled: 3-line block ×3, first 2 shown]
	v_add_f32_e32 v88, v89, v88
	v_add_f32_e32 v89, v93, v92
	v_mul_f32_e32 v92, 0xbf59a7d5, v132
	v_mul_f32_e32 v93, 0x3f65296c, v137
	v_add_f32_e32 v92, v92, v163
	v_sub_f32_e32 v93, v174, v93
	v_add_f32_e32 v89, v92, v89
	v_mul_f32_e32 v92, 0xbe8c1d8e, v134
	v_add_f32_e32 v88, v93, v88
	v_mul_f32_e32 v93, 0x3eb8f4ab, v139
	v_add_f32_e32 v92, v92, v168
	v_sub_f32_e32 v93, v177, v93
	v_add_f32_e32 v89, v92, v89
	v_mul_f32_e32 v92, 0x3ee437d1, v136
	v_add_f32_e32 v92, v92, v170
	v_add_f32_e32 v92, v92, v89
	v_mul_f32_e32 v89, 0x3f6eb680, v138
	v_add_f32_e32 v94, v89, v175
	;; [unrolled: 3-line block ×3, first 2 shown]
	v_mul_f32_e32 v92, 0xbf2c7751, v83
	v_sub_f32_e32 v93, v143, v93
	v_mul_f32_e32 v94, 0x3f3d2fb0, v82
	v_fma_f32 v83, 0xbe8c1d8e, v128, -v106
	v_fma_f32 v106, 0x3f3d2fb0, v138, -v254
	v_sub_f32_e32 v92, v141, v92
	v_add_f32_e32 v94, v94, v140
	v_add_f32_e32 v92, v92, v184
	;; [unrolled: 1-line block ×4, first 2 shown]
	v_mul_f32_e32 v93, 0xbf7ee86f, v131
	v_add_f32_e32 v94, v95, v94
	v_mul_f32_e32 v95, 0x3dbcf732, v130
	v_sub_f32_e32 v93, v145, v93
	v_add_f32_e32 v95, v95, v144
	v_add_f32_e32 v92, v93, v92
	v_mul_f32_e32 v93, 0xbf763a35, v133
	v_sub_f32_e32 v93, v151, v93
	v_add_f32_e32 v92, v93, v92
	v_mul_f32_e32 v93, 0xbf4c4adb, v135
	v_sub_f32_e32 v93, v156, v93
	v_add_f32_e32 v92, v93, v92
	v_add_f32_e32 v93, v95, v94
	v_mul_f32_e32 v94, 0xbe8c1d8e, v132
	v_mul_f32_e32 v95, 0xbf06c442, v137
	v_add_f32_e32 v94, v94, v147
	v_sub_f32_e32 v95, v161, v95
	v_add_f32_e32 v93, v94, v93
	v_mul_f32_e32 v94, 0xbf1a4643, v134
	v_add_f32_e32 v92, v95, v92
	v_mul_f32_e32 v95, 0xbe3c28d5, v139
	v_add_f32_e32 v94, v94, v153
	v_sub_f32_e32 v95, v165, v95
	v_add_f32_e32 v93, v94, v93
	v_mul_f32_e32 v94, 0xbf59a7d5, v136
	v_add_f32_e32 v94, v94, v158
	v_add_f32_e32 v94, v94, v93
	v_mul_f32_e32 v93, 0xbf7ba420, v138
	v_add_f32_e32 v140, v93, v164
	v_add_f32_e32 v93, v95, v92
	v_fma_f32 v95, 0x3f6eb680, v82, -v196
	v_add_f32_e32 v92, v140, v94
	v_add_f32_e32 v94, v99, v186
	;; [unrolled: 1-line block ×3, first 2 shown]
	v_fma_f32 v96, 0xbf59a7d5, v128, -v102
	v_fma_f32 v99, 0x3dbcf732, v138, -v202
	;; [unrolled: 1-line block ×3, first 2 shown]
	v_add_f32_e32 v94, v100, v94
	v_fma_f32 v100, 0xbe8c1d8e, v138, -v215
	v_add_f32_e32 v95, v96, v95
	v_fma_f32 v96, 0x3f3d2fb0, v130, -v197
	v_fma_f32 v105, 0x3f6eb680, v130, -v249
	v_add_f32_e32 v94, v101, v94
	v_fma_f32 v101, 0xbf59a7d5, v82, -v235
	v_add_f32_e32 v95, v96, v95
	;; [unrolled: 2-line block ×3, first 2 shown]
	v_add_f32_e32 v101, v101, v190
	v_add_f32_e32 v95, v96, v95
	v_fma_f32 v96, 0x3ee437d1, v134, -v199
	v_add_f32_e32 v94, v116, v94
	v_add_f32_e32 v101, v102, v101
	v_fma_f32 v102, 0x3ee437d1, v130, -v236
	v_add_f32_e32 v95, v96, v95
	v_fma_f32 v96, 0xbe8c1d8e, v136, -v200
	v_add_f32_e32 v94, v195, v94
	v_add_f32_e32 v101, v102, v101
	v_fma_f32 v102, 0xbf7ba420, v132, -v237
	v_add_f32_e32 v96, v96, v95
	v_add_f32_e32 v95, v201, v94
	v_add_f32_e32 v101, v102, v101
	v_fma_f32 v102, 0x3dbcf732, v134, -v238
	v_add_f32_e32 v94, v99, v96
	v_fma_f32 v99, 0x3ee437d1, v82, -v209
	v_add_f32_e32 v96, v203, v187
	v_add_f32_e32 v101, v102, v101
	v_fma_f32 v102, 0x3f6eb680, v136, -v239
	v_add_f32_e32 v97, v99, v97
	v_fma_f32 v99, 0x3dbcf732, v128, -v103
	;; [unrolled: 2-line block ×3, first 2 shown]
	v_add_f32_e32 v102, v102, v101
	v_add_f32_e32 v97, v99, v97
	v_fma_f32 v99, 0xbf1a4643, v130, -v210
	v_add_f32_e32 v96, v205, v96
	v_add_f32_e32 v97, v99, v97
	v_fma_f32 v99, 0x3f6eb680, v132, -v211
	;; [unrolled: 3-line block ×4, first 2 shown]
	v_add_f32_e32 v96, v208, v96
	v_add_f32_e32 v99, v99, v97
	;; [unrolled: 1-line block ×4, first 2 shown]
	v_fma_f32 v100, 0xbe8c1d8e, v82, -v222
	v_add_f32_e32 v99, v216, v188
	v_add_f32_e32 v98, v100, v98
	v_fma_f32 v100, 0x3f6eb680, v128, -v104
	v_fma_f32 v104, 0xbf7ba420, v128, -v107
	v_add_f32_e32 v99, v217, v99
	v_mov_b32_e32 v107, 3
	v_fma_f32 v128, 0xbf59a7d5, v138, -v180
	v_add_f32_e32 v98, v100, v98
	v_fma_f32 v100, 0xbf59a7d5, v130, -v223
	v_add_f32_e32 v99, v218, v99
	v_add_f32_e32 v98, v100, v98
	v_fma_f32 v100, 0x3dbcf732, v132, -v224
	v_add_f32_e32 v99, v219, v99
	;; [unrolled: 3-line block ×5, first 2 shown]
	v_add_f32_e32 v98, v100, v98
	v_add_f32_e32 v100, v229, v189
	;; [unrolled: 1-line block ×9, first 2 shown]
	v_fma_f32 v103, 0xbf7ba420, v82, -v248
	v_fma_f32 v82, 0xbf1a4643, v82, -v148
	v_add_f32_e32 v102, v242, v191
	v_add_f32_e32 v103, v103, v192
	;; [unrolled: 1-line block ×7, first 2 shown]
	v_fma_f32 v104, 0xbe8c1d8e, v130, -v154
	v_add_f32_e32 v102, v244, v102
	v_add_f32_e32 v83, v105, v83
	v_add_f32_e32 v103, v159, v103
	v_fma_f32 v105, 0x3ee437d1, v132, -v250
	v_add_f32_e32 v82, v104, v82
	v_fma_f32 v104, 0x3f3d2fb0, v132, -v160
	v_add_f32_e32 v102, v245, v102
	v_add_f32_e32 v103, v166, v103
	v_add_f32_e32 v83, v105, v83
	v_fma_f32 v105, 0xbf59a7d5, v134, -v251
	v_add_f32_e32 v82, v104, v82
	;; [unrolled: 6-line block ×3, first 2 shown]
	v_mul_lo_u16 v104, v118, 17
	v_add_f32_e32 v102, v247, v102
	v_add_f32_e32 v105, v105, v83
	;; [unrolled: 1-line block ×3, first 2 shown]
	v_fma_f32 v103, 0x3dbcf732, v136, -v173
	v_lshlrev_b32_sdwa v104, v107, v104 dst_sel:DWORD dst_unused:UNUSED_PAD src0_sel:DWORD src1_sel:WORD_0
	v_add_f32_e32 v115, v179, v83
	v_add_f32_e32 v116, v103, v82
	;; [unrolled: 1-line block ×6, first 2 shown]
	ds_write2_b64 v104, v[72:73], v[92:93] offset1:1
	ds_write2_b64 v104, v[88:89], v[86:87] offset0:2 offset1:3
	ds_write2_b64 v104, v[84:85], v[80:81] offset0:4 offset1:5
	;; [unrolled: 1-line block ×7, first 2 shown]
	ds_write_b64 v104, v[68:69] offset:128
.LBB0_17:
	s_or_b32 exec_lo, exec_lo, s1
	v_add_nc_u32_e32 v72, 0x800, v119
	v_add_nc_u32_e32 v104, 0x1c00, v119
	;; [unrolled: 1-line block ×3, first 2 shown]
	s_waitcnt lgkmcnt(0)
	s_barrier
	buffer_gl0_inv
	ds_read2_b64 v[72:75], v72 offset0:152 offset1:254
	ds_read2_b64 v[76:79], v104 offset0:124 offset1:226
	;; [unrolled: 1-line block ×3, first 2 shown]
	v_add_nc_u32_e32 v105, 0x400, v119
	v_add_nc_u32_e32 v106, 0x2400, v119
	;; [unrolled: 1-line block ×3, first 2 shown]
	ds_read2_b64 v[84:87], v119 offset1:102
	ds_read_b64 v[88:89], v119 offset:11424
	ds_read2_b64 v[92:95], v105 offset0:76 offset1:178
	ds_read2_b64 v[96:99], v106 offset0:72 offset1:174
	;; [unrolled: 1-line block ×3, first 2 shown]
	s_waitcnt lgkmcnt(0)
	s_barrier
	buffer_gl0_inv
	v_mul_f32_e32 v107, v21, v75
	v_mul_f32_e32 v21, v21, v74
	;; [unrolled: 1-line block ×8, first 2 shown]
	v_fmac_f32_e32 v107, v20, v74
	v_fma_f32 v20, v20, v75, -v21
	v_fmac_f32_e32 v115, v22, v76
	v_fma_f32 v21, v22, v77, -v23
	v_fmac_f32_e32 v116, v24, v80
	v_fmac_f32_e32 v128, v26, v78
	v_mul_f32_e32 v75, v13, v101
	v_mul_f32_e32 v13, v13, v100
	;; [unrolled: 1-line block ×8, first 2 shown]
	v_fma_f32 v77, v12, v101, -v13
	v_fmac_f32_e32 v78, v8, v102
	v_fma_f32 v8, v8, v103, -v9
	v_add_f32_e32 v9, v107, v115
	v_fmac_f32_e32 v80, v10, v88
	v_add_f32_e32 v13, v84, v107
	v_fma_f32 v11, v10, v89, -v11
	v_add_f32_e32 v10, v20, v21
	v_fma_f32 v22, v24, v81, -v25
	v_mul_f32_e32 v25, v17, v83
	v_mul_f32_e32 v17, v17, v82
	v_fma_f32 v23, v26, v79, -v27
	v_fmac_f32_e32 v75, v12, v100
	v_fmac_f32_e32 v76, v14, v98
	v_fma_f32 v79, v14, v99, -v15
	v_fma_f32 v12, -0.5, v9, v84
	v_sub_f32_e32 v9, v20, v21
	v_add_f32_e32 v14, v13, v115
	v_fma_f32 v13, -0.5, v10, v85
	v_sub_f32_e32 v10, v107, v115
	v_mul_f32_e32 v26, v19, v97
	v_fmac_f32_e32 v25, v16, v82
	v_mul_f32_e32 v19, v19, v96
	v_fma_f32 v27, v16, v83, -v17
	v_fmamk_f32 v16, v9, 0xbf5db3d7, v12
	v_fmac_f32_e32 v12, 0x3f5db3d7, v9
	v_add_f32_e32 v9, v116, v128
	v_fmamk_f32 v17, v10, 0x3f5db3d7, v13
	v_fmac_f32_e32 v13, 0xbf5db3d7, v10
	v_add_f32_e32 v10, v22, v23
	v_fmac_f32_e32 v26, v18, v96
	v_fma_f32 v74, v18, v97, -v19
	v_add_f32_e32 v15, v85, v20
	v_add_f32_e32 v18, v86, v116
	v_fma_f32 v86, -0.5, v9, v86
	v_sub_f32_e32 v9, v22, v23
	v_add_f32_e32 v19, v87, v22
	v_fmac_f32_e32 v87, -0.5, v10
	v_sub_f32_e32 v10, v116, v128
	v_add_f32_e32 v15, v15, v21
	v_fmamk_f32 v20, v9, 0xbf5db3d7, v86
	v_fmac_f32_e32 v86, 0x3f5db3d7, v9
	v_add_f32_e32 v19, v19, v23
	v_add_f32_e32 v9, v25, v26
	v_fmamk_f32 v21, v10, 0x3f5db3d7, v87
	v_add_f32_e32 v23, v92, v25
	v_fmac_f32_e32 v87, 0xbf5db3d7, v10
	v_add_f32_e32 v10, v27, v74
	v_fma_f32 v22, -0.5, v9, v92
	v_sub_f32_e32 v9, v27, v74
	v_add_f32_e32 v24, v23, v26
	v_add_f32_e32 v27, v93, v27
	v_fma_f32 v23, -0.5, v10, v93
	v_sub_f32_e32 v10, v25, v26
	v_fmamk_f32 v26, v9, 0xbf5db3d7, v22
	v_fmac_f32_e32 v22, 0x3f5db3d7, v9
	v_add_f32_e32 v25, v27, v74
	v_add_f32_e32 v9, v75, v76
	v_fmamk_f32 v27, v10, 0x3f5db3d7, v23
	v_fmac_f32_e32 v23, 0xbf5db3d7, v10
	v_add_f32_e32 v10, v77, v79
	v_add_f32_e32 v74, v94, v75
	v_fma_f32 v94, -0.5, v9, v94
	v_sub_f32_e32 v9, v77, v79
	v_add_f32_e32 v77, v95, v77
	v_fmac_f32_e32 v95, -0.5, v10
	v_sub_f32_e32 v10, v75, v76
	v_add_f32_e32 v74, v74, v76
	v_fmamk_f32 v76, v9, 0xbf5db3d7, v94
	v_fmac_f32_e32 v94, 0x3f5db3d7, v9
	v_add_f32_e32 v75, v77, v79
	v_add_f32_e32 v9, v78, v80
	v_fmamk_f32 v77, v10, 0x3f5db3d7, v95
	v_fmac_f32_e32 v95, 0xbf5db3d7, v10
	v_add_f32_e32 v10, v8, v11
	v_add_f32_e32 v79, v72, v78
	v_fma_f32 v72, -0.5, v9, v72
	v_sub_f32_e32 v9, v8, v11
	v_add_f32_e32 v81, v73, v8
	v_fmac_f32_e32 v73, -0.5, v10
	v_sub_f32_e32 v78, v78, v80
	v_add_f32_e32 v18, v18, v128
	v_add_f32_e32 v8, v79, v80
	v_fmamk_f32 v10, v9, 0xbf5db3d7, v72
	v_fmac_f32_e32 v72, 0x3f5db3d7, v9
	v_add_f32_e32 v9, v81, v11
	v_fmamk_f32 v11, v78, 0x3f5db3d7, v73
	v_fmac_f32_e32 v73, 0xbf5db3d7, v78
	ds_write2_b64 v125, v[14:15], v[16:17] offset1:17
	ds_write_b64 v125, v[12:13] offset:272
	ds_write2_b64 v124, v[18:19], v[20:21] offset1:17
	ds_write_b64 v124, v[86:87] offset:272
	;; [unrolled: 2-line block ×5, first 2 shown]
	v_add_nc_u32_e32 v16, 0xc00, v119
	v_add_nc_u32_e32 v17, 0x1400, v119
	s_waitcnt lgkmcnt(0)
	s_barrier
	buffer_gl0_inv
	ds_read2_b64 v[12:15], v119 offset1:102
	ds_read2_b64 v[80:83], v105 offset0:127 offset1:229
	ds_read2_b64 v[76:79], v16 offset0:126 offset1:228
	;; [unrolled: 1-line block ×5, first 2 shown]
	s_and_saveexec_b32 s1, s0
	s_cbranch_execz .LBB0_19
; %bb.18:
	v_add_nc_u32_e32 v8, 0x1650, v119
	v_add_nc_u32_e32 v9, 0x660, v119
	;; [unrolled: 1-line block ×3, first 2 shown]
	ds_read2_b64 v[72:75], v8 offset1:255
	ds_read2_b64 v[8:11], v9 offset1:255
	;; [unrolled: 1-line block ×3, first 2 shown]
	s_waitcnt lgkmcnt(2)
	v_mov_b32_e32 v90, v74
	v_mov_b32_e32 v91, v75
.LBB0_19:
	s_or_b32 exec_lo, exec_lo, s1
	s_waitcnt lgkmcnt(4)
	v_mul_f32_e32 v74, v37, v81
	v_mul_f32_e32 v37, v37, v80
	s_waitcnt lgkmcnt(3)
	v_mul_f32_e32 v75, v39, v77
	v_mul_f32_e32 v39, v39, v76
	s_waitcnt lgkmcnt(0)
	v_fmac_f32_e32 v74, v36, v80
	v_fma_f32 v36, v36, v81, -v37
	v_mul_f32_e32 v37, v29, v25
	v_fmac_f32_e32 v75, v38, v76
	v_mul_f32_e32 v29, v29, v24
	v_fma_f32 v38, v38, v77, -v39
	v_mul_f32_e32 v39, v31, v21
	v_fmac_f32_e32 v37, v28, v24
	v_mul_f32_e32 v24, v31, v20
	;; [unrolled: 4-line block ×3, first 2 shown]
	v_mul_f32_e32 v29, v41, v83
	v_fma_f32 v21, v30, v21, -v24
	v_fmac_f32_e32 v28, v111, v16
	v_mul_f32_e32 v16, v41, v82
	v_fma_f32 v17, v111, v17, -v20
	v_mul_f32_e32 v20, v43, v78
	v_fmac_f32_e32 v29, v40, v82
	v_mul_f32_e32 v41, v35, v23
	v_fma_f32 v31, v40, v83, -v16
	v_mul_f32_e32 v40, v33, v27
	v_mul_f32_e32 v16, v33, v26
	v_fma_f32 v33, v42, v79, -v20
	v_mul_f32_e32 v20, v35, v22
	v_fmac_f32_e32 v41, v34, v22
	v_fmac_f32_e32 v40, v32, v26
	v_fma_f32 v26, v32, v27, -v16
	v_mul_f32_e32 v27, v114, v19
	v_fma_f32 v32, v34, v23, -v20
	v_add_f32_e32 v20, v75, v39
	v_mul_f32_e32 v16, v114, v18
	v_mul_f32_e32 v30, v43, v79
	v_fmac_f32_e32 v27, v113, v18
	v_add_f32_e32 v18, v12, v75
	v_fma_f32 v23, -0.5, v20, v12
	v_sub_f32_e32 v12, v38, v21
	v_fma_f32 v34, v113, v19, -v16
	v_add_f32_e32 v16, v38, v21
	v_add_f32_e32 v20, v18, v39
	;; [unrolled: 1-line block ×3, first 2 shown]
	v_fmamk_f32 v22, v12, 0xbf5db3d7, v23
	v_fmac_f32_e32 v23, 0x3f5db3d7, v12
	v_add_f32_e32 v12, v25, v17
	v_fma_f32 v35, -0.5, v16, v13
	v_sub_f32_e32 v13, v75, v39
	v_add_f32_e32 v21, v18, v21
	v_add_f32_e32 v16, v37, v28
	v_add_f32_e32 v18, v36, v25
	v_fmac_f32_e32 v36, -0.5, v12
	v_sub_f32_e32 v12, v37, v28
	v_fmamk_f32 v38, v13, 0x3f5db3d7, v35
	v_add_f32_e32 v19, v74, v37
	v_fmac_f32_e32 v74, -0.5, v16
	v_sub_f32_e32 v16, v25, v17
	v_fmac_f32_e32 v35, 0xbf5db3d7, v13
	v_fmamk_f32 v13, v12, 0x3f5db3d7, v36
	v_fmac_f32_e32 v36, 0xbf5db3d7, v12
	v_add_f32_e32 v24, v19, v28
	v_fmamk_f32 v19, v16, 0xbf5db3d7, v74
	v_fmac_f32_e32 v74, 0x3f5db3d7, v16
	v_fmac_f32_e32 v30, v42, v78
	v_mul_f32_e32 v28, 0xbf5db3d7, v36
	v_mul_f32_e32 v25, 0xbf5db3d7, v13
	v_mul_f32_e32 v36, -0.5, v36
	v_add_f32_e32 v37, v18, v17
	v_mul_f32_e32 v39, 0.5, v13
	v_fmac_f32_e32 v28, -0.5, v74
	v_fmac_f32_e32 v25, 0.5, v19
	v_add_f32_e32 v12, v20, v24
	v_fmac_f32_e32 v36, 0x3f5db3d7, v74
	v_sub_f32_e32 v20, v20, v24
	v_add_f32_e32 v18, v23, v28
	v_sub_f32_e32 v24, v23, v28
	v_add_f32_e32 v28, v30, v41
	v_fmac_f32_e32 v39, 0x3f5db3d7, v19
	v_add_f32_e32 v16, v22, v25
	v_add_f32_e32 v13, v21, v37
	v_add_f32_e32 v19, v35, v36
	v_sub_f32_e32 v22, v22, v25
	v_sub_f32_e32 v21, v21, v37
	v_add_f32_e32 v37, v14, v30
	v_sub_f32_e32 v25, v35, v36
	v_add_f32_e32 v35, v33, v32
	v_fma_f32 v14, -0.5, v28, v14
	v_sub_f32_e32 v28, v33, v32
	v_add_f32_e32 v33, v15, v33
	v_add_f32_e32 v17, v38, v39
	v_fmac_f32_e32 v15, -0.5, v35
	v_sub_f32_e32 v23, v38, v39
	v_fmamk_f32 v35, v28, 0xbf5db3d7, v14
	v_fmac_f32_e32 v14, 0x3f5db3d7, v28
	v_add_f32_e32 v28, v26, v34
	v_sub_f32_e32 v30, v30, v41
	v_add_f32_e32 v33, v33, v32
	v_add_f32_e32 v32, v40, v27
	;; [unrolled: 1-line block ×3, first 2 shown]
	v_fmac_f32_e32 v31, -0.5, v28
	v_sub_f32_e32 v28, v40, v27
	v_add_f32_e32 v36, v37, v41
	v_fmamk_f32 v37, v30, 0x3f5db3d7, v15
	v_add_f32_e32 v39, v29, v40
	v_fmac_f32_e32 v29, -0.5, v32
	v_sub_f32_e32 v26, v26, v34
	v_fmac_f32_e32 v15, 0xbf5db3d7, v30
	v_fmamk_f32 v30, v28, 0x3f5db3d7, v31
	v_fmac_f32_e32 v31, 0xbf5db3d7, v28
	v_add_f32_e32 v32, v39, v27
	v_fmamk_f32 v27, v26, 0xbf5db3d7, v29
	v_fmac_f32_e32 v29, 0x3f5db3d7, v26
	v_mul_f32_e32 v39, 0xbf5db3d7, v30
	v_mul_f32_e32 v41, 0.5, v30
	v_mul_f32_e32 v40, 0xbf5db3d7, v31
	v_mul_f32_e32 v42, -0.5, v31
	v_add_f32_e32 v38, v38, v34
	v_fmac_f32_e32 v39, 0.5, v27
	v_fmac_f32_e32 v41, 0x3f5db3d7, v27
	v_fmac_f32_e32 v40, -0.5, v29
	v_fmac_f32_e32 v42, 0x3f5db3d7, v29
	v_add_f32_e32 v26, v36, v32
	v_add_f32_e32 v28, v35, v39
	;; [unrolled: 1-line block ×6, first 2 shown]
	v_sub_f32_e32 v32, v36, v32
	v_sub_f32_e32 v33, v33, v38
	;; [unrolled: 1-line block ×6, first 2 shown]
	s_barrier
	buffer_gl0_inv
	ds_write2_b64 v127, v[12:13], v[16:17] offset1:51
	ds_write2_b64 v127, v[18:19], v[20:21] offset0:102 offset1:153
	ds_write2_b64 v127, v[22:23], v[24:25] offset0:204 offset1:255
	ds_write2_b64 v126, v[26:27], v[28:29] offset1:51
	ds_write2_b64 v126, v[30:31], v[32:33] offset0:102 offset1:153
	ds_write2_b64 v126, v[34:35], v[14:15] offset0:204 offset1:255
	s_and_saveexec_b32 s1, s0
	s_cbranch_execz .LBB0_21
; %bb.20:
	v_mul_f32_e32 v14, v1, v91
	v_mul_f32_e32 v1, v1, v90
	;; [unrolled: 1-line block ×6, first 2 shown]
	v_fma_f32 v18, v0, v91, -v1
	v_fma_f32 v15, v109, v71, -v15
	v_fmac_f32_e32 v14, v0, v90
	v_fmac_f32_e32 v16, v109, v70
	v_mul_f32_e32 v12, v7, v72
	v_mul_f32_e32 v13, v3, v68
	v_fma_f32 v0, v4, v11, -v17
	v_add_f32_e32 v11, v18, v15
	v_mul_f32_e32 v7, v7, v73
	v_mul_f32_e32 v17, v3, v69
	v_fmac_f32_e32 v5, v4, v10
	v_add_f32_e32 v3, v14, v16
	v_fma_f32 v12, v6, v73, -v12
	v_fma_f32 v13, v2, v69, -v13
	v_fma_f32 v4, -0.5, v11, v0
	v_sub_f32_e32 v10, v14, v16
	v_fmac_f32_e32 v7, v6, v72
	v_fmac_f32_e32 v17, v2, v68
	v_fma_f32 v2, -0.5, v3, v5
	v_sub_f32_e32 v3, v18, v15
	v_add_f32_e32 v1, v12, v13
	v_fmamk_f32 v6, v10, 0xbf5db3d7, v4
	v_fmac_f32_e32 v4, 0x3f5db3d7, v10
	v_add_f32_e32 v0, v0, v18
	v_fmamk_f32 v20, v3, 0x3f5db3d7, v2
	v_fmac_f32_e32 v2, 0xbf5db3d7, v3
	v_add_f32_e32 v3, v7, v17
	v_fma_f32 v11, -0.5, v1, v9
	v_sub_f32_e32 v19, v7, v17
	v_mul_f32_e32 v21, -0.5, v6
	v_mul_f32_e32 v22, 0.5, v4
	v_add_f32_e32 v9, v9, v12
	v_fma_f32 v18, -0.5, v3, v8
	v_sub_f32_e32 v12, v12, v13
	v_add_f32_e32 v15, v0, v15
	v_add_f32_e32 v0, v8, v7
	;; [unrolled: 1-line block ×3, first 2 shown]
	v_mul_f32_e32 v14, 0xbf5db3d7, v4
	v_mov_b32_e32 v8, 3
	v_mul_f32_e32 v6, 0xbf5db3d7, v6
	v_fmamk_f32 v10, v19, 0xbf5db3d7, v11
	v_fmac_f32_e32 v21, 0x3f5db3d7, v20
	v_fmac_f32_e32 v11, 0x3f5db3d7, v19
	v_fmac_f32_e32 v22, 0x3f5db3d7, v2
	v_add_f32_e32 v13, v9, v13
	v_fmamk_f32 v19, v12, 0x3f5db3d7, v18
	v_add_f32_e32 v17, v0, v17
	v_add_f32_e32 v16, v7, v16
	v_fmac_f32_e32 v18, 0xbf5db3d7, v12
	v_fmac_f32_e32 v14, 0.5, v2
	v_lshlrev_b32_sdwa v2, v8, v120 dst_sel:DWORD dst_unused:UNUSED_PAD src0_sel:DWORD src1_sel:WORD_0
	v_fmac_f32_e32 v6, -0.5, v20
	v_sub_f32_e32 v1, v10, v21
	v_sub_f32_e32 v3, v11, v22
	v_add_f32_e32 v7, v10, v21
	v_add_f32_e32 v9, v11, v22
	;; [unrolled: 1-line block ×5, first 2 shown]
	v_add_nc_u32_e32 v12, 0x2000, v2
	v_sub_f32_e32 v5, v13, v15
	v_sub_f32_e32 v0, v19, v6
	v_sub_f32_e32 v4, v17, v16
	v_add_f32_e32 v6, v19, v6
	v_add_nc_u32_e32 v13, 0x2800, v2
	v_sub_f32_e32 v2, v18, v14
	ds_write2_b64 v12, v[10:11], v[8:9] offset0:200 offset1:251
	ds_write2_b64 v13, v[6:7], v[4:5] offset0:46 offset1:97
	;; [unrolled: 1-line block ×3, first 2 shown]
.LBB0_21:
	s_or_b32 exec_lo, exec_lo, s1
	v_add_nc_u32_e32 v30, 0x400, v119
	v_add_nc_u32_e32 v31, 0x1000, v119
	;; [unrolled: 1-line block ×5, first 2 shown]
	s_waitcnt lgkmcnt(0)
	s_barrier
	buffer_gl0_inv
	ds_read2_b64 v[0:3], v30 offset0:76 offset1:178
	ds_read2_b64 v[4:7], v31 offset0:100 offset1:202
	;; [unrolled: 1-line block ×5, first 2 shown]
	v_add_nc_u32_e32 v35, 0x1c00, v119
	ds_read2_b64 v[20:23], v119 offset1:102
	ds_read_b64 v[28:29], v119 offset:11424
	ds_read2_b64 v[24:27], v35 offset0:124 offset1:226
	s_waitcnt lgkmcnt(5)
	v_mul_f32_e32 v40, v49, v11
	v_mul_f32_e32 v36, v53, v3
	;; [unrolled: 1-line block ×5, first 2 shown]
	s_waitcnt lgkmcnt(4)
	v_mul_f32_e32 v42, v51, v13
	v_mul_f32_e32 v43, v51, v12
	v_fmac_f32_e32 v36, v52, v2
	v_fma_f32 v37, v52, v3, -v37
	v_fmac_f32_e32 v40, v48, v10
	s_waitcnt lgkmcnt(3)
	v_mul_f32_e32 v2, v65, v16
	v_fma_f32 v41, v48, v11, -v41
	s_waitcnt lgkmcnt(0)
	v_mul_f32_e32 v48, v57, v25
	v_mul_f32_e32 v3, v57, v24
	;; [unrolled: 1-line block ×3, first 2 shown]
	v_fmac_f32_e32 v38, v54, v4
	v_fmac_f32_e32 v42, v50, v12
	v_fma_f32 v12, v50, v13, -v43
	v_fma_f32 v43, v64, v17, -v2
	v_mul_f32_e32 v2, v67, v6
	v_fmac_f32_e32 v48, v56, v24
	v_fma_f32 v24, v56, v25, -v3
	v_mul_f32_e32 v3, v61, v18
	v_mul_f32_e32 v4, v63, v8
	v_fma_f32 v39, v54, v5, -v39
	v_fma_f32 v51, v66, v7, -v2
	v_mul_f32_e32 v2, v59, v14
	v_fma_f32 v54, v60, v19, -v3
	v_fma_f32 v55, v62, v9, -v4
	v_mul_f32_e32 v3, v45, v26
	v_add_f32_e32 v4, v20, v36
	v_mul_f32_e32 v49, v65, v17
	v_mul_f32_e32 v17, v67, v7
	;; [unrolled: 1-line block ×3, first 2 shown]
	v_fma_f32 v53, v58, v15, -v2
	v_add_f32_e32 v2, v38, v40
	v_mul_f32_e32 v56, v45, v27
	v_fma_f32 v27, v44, v27, -v3
	v_add_f32_e32 v3, v4, v38
	v_mul_f32_e32 v50, v59, v15
	v_fmac_f32_e32 v17, v66, v6
	v_fmac_f32_e32 v52, v62, v8
	v_fma_f32 v2, -0.5, v2, v20
	v_sub_f32_e32 v5, v37, v12
	v_sub_f32_e32 v6, v36, v38
	;; [unrolled: 1-line block ×3, first 2 shown]
	v_add_f32_e32 v9, v36, v42
	v_add_f32_e32 v3, v3, v40
	v_fmac_f32_e32 v50, v58, v14
	v_fmamk_f32 v4, v5, 0xbf737871, v2
	v_sub_f32_e32 v7, v39, v41
	v_mul_f32_e32 v10, v47, v28
	v_add_f32_e32 v11, v6, v8
	v_fma_f32 v6, -0.5, v9, v20
	v_add_f32_e32 v8, v3, v42
	v_fmac_f32_e32 v2, 0x3f737871, v5
	v_sub_f32_e32 v3, v38, v36
	v_sub_f32_e32 v9, v40, v42
	v_add_f32_e32 v13, v21, v37
	v_add_f32_e32 v14, v39, v41
	v_fmac_f32_e32 v56, v44, v26
	v_fmac_f32_e32 v4, 0xbf167918, v7
	v_fma_f32 v44, v46, v29, -v10
	v_fmamk_f32 v10, v7, 0x3f737871, v6
	v_fmac_f32_e32 v2, 0x3f167918, v7
	v_add_f32_e32 v9, v3, v9
	v_fmac_f32_e32 v6, 0xbf737871, v7
	v_add_f32_e32 v7, v13, v39
	v_fma_f32 v3, -0.5, v14, v21
	v_sub_f32_e32 v13, v36, v42
	v_fmac_f32_e32 v49, v64, v16
	v_fmac_f32_e32 v4, 0x3e9e377a, v11
	;; [unrolled: 1-line block ×5, first 2 shown]
	v_add_f32_e32 v11, v7, v41
	v_fmamk_f32 v5, v13, 0x3f737871, v3
	v_add_f32_e32 v7, v37, v12
	v_sub_f32_e32 v14, v38, v40
	v_sub_f32_e32 v15, v37, v39
	v_sub_f32_e32 v16, v12, v41
	v_fmac_f32_e32 v3, 0xbf737871, v13
	v_mul_f32_e32 v25, v61, v19
	v_fma_f32 v7, -0.5, v7, v21
	v_fmac_f32_e32 v5, 0x3f167918, v14
	v_add_f32_e32 v15, v15, v16
	v_fmac_f32_e32 v3, 0xbf167918, v14
	v_add_f32_e32 v19, v22, v49
	v_fmac_f32_e32 v25, v60, v18
	v_fmac_f32_e32 v10, 0x3e9e377a, v9
	;; [unrolled: 1-line block ×3, first 2 shown]
	v_add_f32_e32 v9, v11, v12
	v_fmamk_f32 v11, v14, 0xbf737871, v7
	v_sub_f32_e32 v16, v39, v37
	v_sub_f32_e32 v12, v41, v12
	v_fmac_f32_e32 v5, 0x3e9e377a, v15
	v_add_f32_e32 v18, v17, v48
	v_fmac_f32_e32 v3, 0x3e9e377a, v15
	v_fmac_f32_e32 v7, 0x3f737871, v14
	v_add_f32_e32 v15, v19, v17
	v_add_f32_e32 v26, v49, v50
	v_mul_f32_e32 v45, v47, v29
	v_fmac_f32_e32 v11, 0x3f167918, v13
	v_add_f32_e32 v16, v16, v12
	v_fma_f32 v12, -0.5, v18, v22
	v_sub_f32_e32 v20, v43, v53
	v_sub_f32_e32 v19, v51, v24
	;; [unrolled: 1-line block ×4, first 2 shown]
	v_fmac_f32_e32 v7, 0xbf167918, v13
	v_add_f32_e32 v13, v15, v48
	v_fma_f32 v22, -0.5, v26, v22
	v_fmac_f32_e32 v45, v46, v28
	v_fmac_f32_e32 v11, 0x3e9e377a, v16
	v_fmamk_f32 v14, v20, 0xbf737871, v12
	v_add_f32_e32 v15, v18, v21
	v_fmac_f32_e32 v7, 0x3e9e377a, v16
	v_add_f32_e32 v16, v13, v50
	v_fmac_f32_e32 v12, 0x3f737871, v20
	v_fmamk_f32 v18, v19, 0x3f737871, v22
	v_sub_f32_e32 v13, v17, v49
	v_sub_f32_e32 v21, v48, v50
	v_add_f32_e32 v26, v23, v43
	v_add_f32_e32 v28, v51, v24
	v_fmac_f32_e32 v22, 0xbf737871, v19
	v_fmac_f32_e32 v14, 0xbf167918, v19
	v_fmac_f32_e32 v12, 0x3f167918, v19
	v_fmac_f32_e32 v18, 0xbf167918, v20
	v_add_f32_e32 v21, v13, v21
	v_add_f32_e32 v19, v26, v51
	v_fma_f32 v13, -0.5, v28, v23
	v_sub_f32_e32 v26, v49, v50
	v_fmac_f32_e32 v22, 0x3f167918, v20
	v_add_f32_e32 v20, v43, v53
	v_sub_f32_e32 v29, v43, v51
	v_sub_f32_e32 v36, v53, v24
	v_fmac_f32_e32 v14, 0x3e9e377a, v15
	v_fmac_f32_e32 v12, 0x3e9e377a, v15
	;; [unrolled: 1-line block ×3, first 2 shown]
	v_add_f32_e32 v19, v19, v24
	v_fmamk_f32 v15, v26, 0x3f737871, v13
	v_sub_f32_e32 v28, v17, v48
	v_fmac_f32_e32 v22, 0x3e9e377a, v21
	v_fmac_f32_e32 v23, -0.5, v20
	v_add_f32_e32 v21, v29, v36
	v_fmac_f32_e32 v13, 0xbf737871, v26
	v_sub_f32_e32 v20, v51, v43
	v_sub_f32_e32 v24, v24, v53
	v_add_f32_e32 v29, v52, v56
	v_add_f32_e32 v17, v19, v53
	v_fmac_f32_e32 v15, 0x3f167918, v28
	v_fmamk_f32 v19, v28, 0xbf737871, v23
	v_fmac_f32_e32 v13, 0xbf167918, v28
	v_add_f32_e32 v36, v20, v24
	v_fmac_f32_e32 v23, 0x3f737871, v28
	v_add_f32_e32 v24, v0, v25
	v_fma_f32 v20, -0.5, v29, v0
	v_sub_f32_e32 v29, v54, v44
	v_fmac_f32_e32 v15, 0x3e9e377a, v21
	v_fmac_f32_e32 v19, 0x3f167918, v26
	v_fmac_f32_e32 v13, 0x3e9e377a, v21
	v_fmac_f32_e32 v23, 0xbf167918, v26
	v_add_f32_e32 v21, v24, v52
	v_fmamk_f32 v24, v29, 0xbf737871, v20
	v_sub_f32_e32 v37, v55, v27
	v_sub_f32_e32 v26, v25, v52
	;; [unrolled: 1-line block ×3, first 2 shown]
	v_fmac_f32_e32 v20, 0x3f737871, v29
	v_add_f32_e32 v38, v25, v45
	v_fmac_f32_e32 v24, 0xbf167918, v37
	v_add_f32_e32 v21, v21, v56
	v_add_f32_e32 v28, v26, v28
	v_fmac_f32_e32 v20, 0x3f167918, v37
	v_fma_f32 v0, -0.5, v38, v0
	v_fmac_f32_e32 v19, 0x3e9e377a, v36
	v_add_f32_e32 v26, v21, v45
	v_fmac_f32_e32 v24, 0x3e9e377a, v28
	v_fmac_f32_e32 v20, 0x3e9e377a, v28
	v_fmamk_f32 v28, v37, 0x3f737871, v0
	v_fmac_f32_e32 v0, 0xbf737871, v37
	v_add_f32_e32 v37, v1, v54
	v_add_f32_e32 v21, v55, v27
	v_fmac_f32_e32 v23, 0x3e9e377a, v36
	v_sub_f32_e32 v36, v52, v25
	v_sub_f32_e32 v38, v56, v45
	v_fmac_f32_e32 v28, 0xbf167918, v29
	v_fmac_f32_e32 v0, 0x3f167918, v29
	v_add_f32_e32 v29, v37, v55
	v_add_f32_e32 v37, v54, v44
	v_fma_f32 v21, -0.5, v21, v1
	v_sub_f32_e32 v39, v25, v45
	v_add_f32_e32 v36, v36, v38
	v_sub_f32_e32 v38, v52, v56
	v_fmac_f32_e32 v1, -0.5, v37
	v_sub_f32_e32 v37, v54, v55
	v_fmamk_f32 v25, v39, 0x3f737871, v21
	v_sub_f32_e32 v40, v44, v27
	v_fmac_f32_e32 v28, 0x3e9e377a, v36
	v_fmac_f32_e32 v0, 0x3e9e377a, v36
	v_add_f32_e32 v36, v29, v27
	v_fmac_f32_e32 v21, 0xbf737871, v39
	v_fmamk_f32 v29, v38, 0xbf737871, v1
	v_sub_f32_e32 v41, v55, v54
	v_sub_f32_e32 v27, v27, v44
	v_fmac_f32_e32 v1, 0x3f737871, v38
	v_fmac_f32_e32 v25, 0x3f167918, v38
	v_add_f32_e32 v37, v37, v40
	v_fmac_f32_e32 v21, 0xbf167918, v38
	v_fmac_f32_e32 v29, 0x3f167918, v39
	v_add_f32_e32 v38, v41, v27
	v_fmac_f32_e32 v1, 0xbf167918, v39
	v_add_f32_e32 v27, v36, v44
	v_fmac_f32_e32 v25, 0x3e9e377a, v37
	v_fmac_f32_e32 v21, 0x3e9e377a, v37
	v_fmac_f32_e32 v29, 0x3e9e377a, v38
	v_fmac_f32_e32 v1, 0x3e9e377a, v38
	ds_write2_b64 v119, v[8:9], v[16:17] offset1:102
	ds_write2_b64 v31, v[10:11], v[18:19] offset0:100 offset1:202
	ds_write2_b64 v33, v[2:3], v[12:13] offset0:72 offset1:174
	;; [unrolled: 1-line block ×6, first 2 shown]
	ds_write_b64 v119, v[20:21] offset:11424
	s_waitcnt lgkmcnt(0)
	s_barrier
	buffer_gl0_inv
	s_and_b32 exec_lo, exec_lo, vcc_lo
	s_cbranch_execz .LBB0_23
; %bb.22:
	global_load_dwordx2 v[0:1], v117, s[12:13]
	ds_read_b64 v[2:3], v119
	s_mov_b32 s0, 0x156ac015
	s_mov_b32 s1, 0x3f456ac0
	v_mad_u64_u32 v[6:7], null, s4, v118, 0
	s_mul_i32 s2, s5, 0x2d0
	s_mul_i32 s3, s4, 0x2d0
	s_waitcnt vmcnt(0) lgkmcnt(0)
	v_mul_f32_e32 v4, v3, v1
	v_mul_f32_e32 v1, v2, v1
	v_fmac_f32_e32 v4, v2, v0
	v_fma_f32 v2, v0, v3, -v1
	v_cvt_f64_f32_e32 v[0:1], v4
	v_cvt_f64_f32_e32 v[2:3], v2
	v_mad_u64_u32 v[4:5], null, s6, v108, 0
	v_mad_u64_u32 v[8:9], null, s7, v108, v[5:6]
	;; [unrolled: 1-line block ×3, first 2 shown]
	v_mov_b32_e32 v5, v8
	s_mul_hi_u32 s5, s4, 0x2d0
	v_mul_f64 v[0:1], v[0:1], s[0:1]
	v_mul_f64 v[2:3], v[2:3], s[0:1]
	s_add_i32 s2, s5, s2
	v_add_co_u32 v10, s4, s12, v117
	v_mov_b32_e32 v7, v9
	v_add_co_ci_u32_e64 v11, null, s13, 0, s4
	v_cvt_f32_f64_e32 v0, v[0:1]
	v_cvt_f32_f64_e32 v1, v[2:3]
	v_lshlrev_b64 v[2:3], 3, v[4:5]
	v_lshlrev_b64 v[4:5], 3, v[6:7]
	v_add_co_u32 v2, vcc_lo, s14, v2
	v_add_co_ci_u32_e32 v3, vcc_lo, s15, v3, vcc_lo
	v_add_co_u32 v4, vcc_lo, v2, v4
	v_add_co_ci_u32_e32 v5, vcc_lo, v3, v5, vcc_lo
	global_store_dwordx2 v[4:5], v[0:1], off
	global_load_dwordx2 v[6:7], v117, s[12:13] offset:720
	ds_read2_b64 v[0:3], v117 offset0:90 offset1:180
	v_add_co_u32 v4, vcc_lo, v4, s3
	v_add_co_ci_u32_e32 v5, vcc_lo, s2, v5, vcc_lo
	s_waitcnt vmcnt(0) lgkmcnt(0)
	v_mul_f32_e32 v8, v1, v7
	v_mul_f32_e32 v7, v0, v7
	v_fmac_f32_e32 v8, v0, v6
	v_fma_f32 v6, v6, v1, -v7
	v_cvt_f64_f32_e32 v[0:1], v8
	v_cvt_f64_f32_e32 v[6:7], v6
	v_mul_f64 v[0:1], v[0:1], s[0:1]
	v_mul_f64 v[6:7], v[6:7], s[0:1]
	v_cvt_f32_f64_e32 v0, v[0:1]
	v_cvt_f32_f64_e32 v1, v[6:7]
	global_store_dwordx2 v[4:5], v[0:1], off
	global_load_dwordx2 v[0:1], v117, s[12:13] offset:1440
	v_add_co_u32 v4, vcc_lo, v4, s3
	v_add_co_ci_u32_e32 v5, vcc_lo, s2, v5, vcc_lo
	s_waitcnt vmcnt(0)
	v_mul_f32_e32 v6, v3, v1
	v_mul_f32_e32 v1, v2, v1
	v_fmac_f32_e32 v6, v2, v0
	v_fma_f32 v2, v0, v3, -v1
	v_cvt_f64_f32_e32 v[0:1], v6
	v_cvt_f64_f32_e32 v[2:3], v2
	v_add_co_u32 v6, vcc_lo, 0x800, v10
	v_add_co_ci_u32_e32 v7, vcc_lo, 0, v11, vcc_lo
	v_mul_f64 v[0:1], v[0:1], s[0:1]
	v_mul_f64 v[2:3], v[2:3], s[0:1]
	v_cvt_f32_f64_e32 v0, v[0:1]
	v_cvt_f32_f64_e32 v1, v[2:3]
	global_store_dwordx2 v[4:5], v[0:1], off
	global_load_dwordx2 v[8:9], v[6:7], off offset:112
	v_add_nc_u32_e32 v0, 0x800, v117
	v_add_co_u32 v4, vcc_lo, v4, s3
	v_add_co_ci_u32_e32 v5, vcc_lo, s2, v5, vcc_lo
	ds_read2_b64 v[0:3], v0 offset0:14 offset1:104
	s_waitcnt vmcnt(0) lgkmcnt(0)
	v_mul_f32_e32 v12, v1, v9
	v_mul_f32_e32 v9, v0, v9
	v_fmac_f32_e32 v12, v0, v8
	v_fma_f32 v8, v8, v1, -v9
	v_cvt_f64_f32_e32 v[0:1], v12
	v_cvt_f64_f32_e32 v[8:9], v8
	v_mul_f64 v[0:1], v[0:1], s[0:1]
	v_mul_f64 v[8:9], v[8:9], s[0:1]
	v_cvt_f32_f64_e32 v0, v[0:1]
	v_cvt_f32_f64_e32 v1, v[8:9]
	global_store_dwordx2 v[4:5], v[0:1], off
	global_load_dwordx2 v[0:1], v[6:7], off offset:832
	v_add_co_u32 v4, vcc_lo, v4, s3
	v_add_co_ci_u32_e32 v5, vcc_lo, s2, v5, vcc_lo
	s_waitcnt vmcnt(0)
	v_mul_f32_e32 v8, v3, v1
	v_mul_f32_e32 v1, v2, v1
	v_fmac_f32_e32 v8, v2, v0
	v_fma_f32 v2, v0, v3, -v1
	v_cvt_f64_f32_e32 v[0:1], v8
	v_cvt_f64_f32_e32 v[2:3], v2
	v_mul_f64 v[0:1], v[0:1], s[0:1]
	v_mul_f64 v[2:3], v[2:3], s[0:1]
	v_cvt_f32_f64_e32 v0, v[0:1]
	v_cvt_f32_f64_e32 v1, v[2:3]
	global_store_dwordx2 v[4:5], v[0:1], off
	global_load_dwordx2 v[6:7], v[6:7], off offset:1552
	v_add_nc_u32_e32 v0, 0xc00, v117
	v_add_co_u32 v4, vcc_lo, v4, s3
	v_add_co_ci_u32_e32 v5, vcc_lo, s2, v5, vcc_lo
	ds_read2_b64 v[0:3], v0 offset0:66 offset1:156
	s_waitcnt vmcnt(0) lgkmcnt(0)
	v_mul_f32_e32 v8, v1, v7
	v_mul_f32_e32 v7, v0, v7
	v_fmac_f32_e32 v8, v0, v6
	v_fma_f32 v6, v6, v1, -v7
	v_cvt_f64_f32_e32 v[0:1], v8
	v_cvt_f64_f32_e32 v[6:7], v6
	v_mul_f64 v[0:1], v[0:1], s[0:1]
	v_mul_f64 v[6:7], v[6:7], s[0:1]
	v_cvt_f32_f64_e32 v0, v[0:1]
	v_cvt_f32_f64_e32 v1, v[6:7]
	v_add_co_u32 v6, vcc_lo, 0x1000, v10
	v_add_co_ci_u32_e32 v7, vcc_lo, 0, v11, vcc_lo
	global_store_dwordx2 v[4:5], v[0:1], off
	global_load_dwordx2 v[0:1], v[6:7], off offset:224
	v_add_co_u32 v4, vcc_lo, v4, s3
	v_add_co_ci_u32_e32 v5, vcc_lo, s2, v5, vcc_lo
	s_waitcnt vmcnt(0)
	v_mul_f32_e32 v8, v3, v1
	v_mul_f32_e32 v1, v2, v1
	v_fmac_f32_e32 v8, v2, v0
	v_fma_f32 v2, v0, v3, -v1
	v_cvt_f64_f32_e32 v[0:1], v8
	v_cvt_f64_f32_e32 v[2:3], v2
	v_mul_f64 v[0:1], v[0:1], s[0:1]
	v_mul_f64 v[2:3], v[2:3], s[0:1]
	v_cvt_f32_f64_e32 v0, v[0:1]
	v_cvt_f32_f64_e32 v1, v[2:3]
	global_store_dwordx2 v[4:5], v[0:1], off
	global_load_dwordx2 v[8:9], v[6:7], off offset:944
	v_add_nc_u32_e32 v0, 0x1000, v117
	v_add_co_u32 v4, vcc_lo, v4, s3
	v_add_co_ci_u32_e32 v5, vcc_lo, s2, v5, vcc_lo
	ds_read2_b64 v[0:3], v0 offset0:118 offset1:208
	s_waitcnt vmcnt(0) lgkmcnt(0)
	v_mul_f32_e32 v12, v1, v9
	v_mul_f32_e32 v9, v0, v9
	v_fmac_f32_e32 v12, v0, v8
	v_fma_f32 v8, v8, v1, -v9
	v_cvt_f64_f32_e32 v[0:1], v12
	v_cvt_f64_f32_e32 v[8:9], v8
	v_mul_f64 v[0:1], v[0:1], s[0:1]
	v_mul_f64 v[8:9], v[8:9], s[0:1]
	v_cvt_f32_f64_e32 v0, v[0:1]
	v_cvt_f32_f64_e32 v1, v[8:9]
	global_store_dwordx2 v[4:5], v[0:1], off
	global_load_dwordx2 v[0:1], v[6:7], off offset:1664
	v_add_co_u32 v4, vcc_lo, v4, s3
	v_add_co_ci_u32_e32 v5, vcc_lo, s2, v5, vcc_lo
	s_waitcnt vmcnt(0)
	v_mul_f32_e32 v6, v3, v1
	v_mul_f32_e32 v1, v2, v1
	v_fmac_f32_e32 v6, v2, v0
	v_fma_f32 v2, v0, v3, -v1
	v_cvt_f64_f32_e32 v[0:1], v6
	v_cvt_f64_f32_e32 v[2:3], v2
	v_add_co_u32 v6, vcc_lo, 0x1800, v10
	v_add_co_ci_u32_e32 v7, vcc_lo, 0, v11, vcc_lo
	v_mul_f64 v[0:1], v[0:1], s[0:1]
	v_mul_f64 v[2:3], v[2:3], s[0:1]
	v_cvt_f32_f64_e32 v0, v[0:1]
	v_cvt_f32_f64_e32 v1, v[2:3]
	global_store_dwordx2 v[4:5], v[0:1], off
	global_load_dwordx2 v[8:9], v[6:7], off offset:336
	v_add_nc_u32_e32 v0, 0x1800, v117
	v_add_co_u32 v4, vcc_lo, v4, s3
	v_add_co_ci_u32_e32 v5, vcc_lo, s2, v5, vcc_lo
	ds_read2_b64 v[0:3], v0 offset0:42 offset1:132
	s_waitcnt vmcnt(0) lgkmcnt(0)
	v_mul_f32_e32 v12, v1, v9
	v_mul_f32_e32 v9, v0, v9
	v_fmac_f32_e32 v12, v0, v8
	v_fma_f32 v8, v8, v1, -v9
	v_cvt_f64_f32_e32 v[0:1], v12
	v_cvt_f64_f32_e32 v[8:9], v8
	v_mul_f64 v[0:1], v[0:1], s[0:1]
	v_mul_f64 v[8:9], v[8:9], s[0:1]
	v_cvt_f32_f64_e32 v0, v[0:1]
	v_cvt_f32_f64_e32 v1, v[8:9]
	global_store_dwordx2 v[4:5], v[0:1], off
	global_load_dwordx2 v[0:1], v[6:7], off offset:1056
	v_add_co_u32 v4, vcc_lo, v4, s3
	v_add_co_ci_u32_e32 v5, vcc_lo, s2, v5, vcc_lo
	s_waitcnt vmcnt(0)
	v_mul_f32_e32 v8, v3, v1
	v_mul_f32_e32 v1, v2, v1
	v_fmac_f32_e32 v8, v2, v0
	v_fma_f32 v2, v0, v3, -v1
	v_cvt_f64_f32_e32 v[0:1], v8
	v_cvt_f64_f32_e32 v[2:3], v2
	v_mul_f64 v[0:1], v[0:1], s[0:1]
	v_mul_f64 v[2:3], v[2:3], s[0:1]
	v_cvt_f32_f64_e32 v0, v[0:1]
	v_cvt_f32_f64_e32 v1, v[2:3]
	global_store_dwordx2 v[4:5], v[0:1], off
	global_load_dwordx2 v[6:7], v[6:7], off offset:1776
	v_add_nc_u32_e32 v0, 0x1c00, v117
	v_add_co_u32 v4, vcc_lo, v4, s3
	v_add_co_ci_u32_e32 v5, vcc_lo, s2, v5, vcc_lo
	ds_read2_b64 v[0:3], v0 offset0:94 offset1:184
	s_waitcnt vmcnt(0) lgkmcnt(0)
	v_mul_f32_e32 v8, v1, v7
	v_mul_f32_e32 v7, v0, v7
	v_fmac_f32_e32 v8, v0, v6
	v_fma_f32 v6, v6, v1, -v7
	v_cvt_f64_f32_e32 v[0:1], v8
	v_cvt_f64_f32_e32 v[6:7], v6
	v_mul_f64 v[0:1], v[0:1], s[0:1]
	v_mul_f64 v[6:7], v[6:7], s[0:1]
	v_cvt_f32_f64_e32 v0, v[0:1]
	v_cvt_f32_f64_e32 v1, v[6:7]
	v_add_co_u32 v6, vcc_lo, 0x2000, v10
	v_add_co_ci_u32_e32 v7, vcc_lo, 0, v11, vcc_lo
	global_store_dwordx2 v[4:5], v[0:1], off
	global_load_dwordx2 v[0:1], v[6:7], off offset:448
	v_add_co_u32 v4, vcc_lo, v4, s3
	v_add_co_ci_u32_e32 v5, vcc_lo, s2, v5, vcc_lo
	s_waitcnt vmcnt(0)
	v_mul_f32_e32 v8, v3, v1
	v_mul_f32_e32 v1, v2, v1
	v_fmac_f32_e32 v8, v2, v0
	v_fma_f32 v2, v0, v3, -v1
	v_cvt_f64_f32_e32 v[0:1], v8
	v_cvt_f64_f32_e32 v[2:3], v2
	v_mul_f64 v[0:1], v[0:1], s[0:1]
	v_mul_f64 v[2:3], v[2:3], s[0:1]
	v_cvt_f32_f64_e32 v0, v[0:1]
	v_cvt_f32_f64_e32 v1, v[2:3]
	global_store_dwordx2 v[4:5], v[0:1], off
	global_load_dwordx2 v[8:9], v[6:7], off offset:1168
	v_add_nc_u32_e32 v0, 0x2000, v117
	v_add_co_u32 v4, vcc_lo, v4, s3
	v_add_co_ci_u32_e32 v5, vcc_lo, s2, v5, vcc_lo
	ds_read2_b64 v[0:3], v0 offset0:146 offset1:236
	s_waitcnt vmcnt(0) lgkmcnt(0)
	v_mul_f32_e32 v12, v1, v9
	v_mul_f32_e32 v9, v0, v9
	v_fmac_f32_e32 v12, v0, v8
	v_fma_f32 v8, v8, v1, -v9
	v_cvt_f64_f32_e32 v[0:1], v12
	v_cvt_f64_f32_e32 v[8:9], v8
	v_mul_f64 v[0:1], v[0:1], s[0:1]
	v_mul_f64 v[8:9], v[8:9], s[0:1]
	v_cvt_f32_f64_e32 v0, v[0:1]
	v_cvt_f32_f64_e32 v1, v[8:9]
	global_store_dwordx2 v[4:5], v[0:1], off
	global_load_dwordx2 v[0:1], v[6:7], off offset:1888
	v_add_co_u32 v4, vcc_lo, v4, s3
	v_add_co_ci_u32_e32 v5, vcc_lo, s2, v5, vcc_lo
	s_waitcnt vmcnt(0)
	v_mul_f32_e32 v6, v3, v1
	v_mul_f32_e32 v1, v2, v1
	v_fmac_f32_e32 v6, v2, v0
	v_fma_f32 v2, v0, v3, -v1
	v_cvt_f64_f32_e32 v[0:1], v6
	v_cvt_f64_f32_e32 v[2:3], v2
	v_add_co_u32 v6, vcc_lo, 0x2800, v10
	v_add_co_ci_u32_e32 v7, vcc_lo, 0, v11, vcc_lo
	v_mul_f64 v[0:1], v[0:1], s[0:1]
	v_mul_f64 v[2:3], v[2:3], s[0:1]
	v_cvt_f32_f64_e32 v0, v[0:1]
	v_cvt_f32_f64_e32 v1, v[2:3]
	global_store_dwordx2 v[4:5], v[0:1], off
	global_load_dwordx2 v[8:9], v[6:7], off offset:560
	v_add_nc_u32_e32 v0, 0x2800, v117
	v_add_co_u32 v4, vcc_lo, v4, s3
	v_add_co_ci_u32_e32 v5, vcc_lo, s2, v5, vcc_lo
	ds_read2_b64 v[0:3], v0 offset0:70 offset1:160
	s_waitcnt vmcnt(0) lgkmcnt(0)
	v_mul_f32_e32 v10, v1, v9
	v_mul_f32_e32 v9, v0, v9
	v_fmac_f32_e32 v10, v0, v8
	v_fma_f32 v8, v8, v1, -v9
	v_cvt_f64_f32_e32 v[0:1], v10
	v_cvt_f64_f32_e32 v[8:9], v8
	v_mul_f64 v[0:1], v[0:1], s[0:1]
	v_mul_f64 v[8:9], v[8:9], s[0:1]
	v_cvt_f32_f64_e32 v0, v[0:1]
	v_cvt_f32_f64_e32 v1, v[8:9]
	global_store_dwordx2 v[4:5], v[0:1], off
	global_load_dwordx2 v[0:1], v[6:7], off offset:1280
	s_waitcnt vmcnt(0)
	v_mul_f32_e32 v6, v3, v1
	v_mul_f32_e32 v1, v2, v1
	v_fmac_f32_e32 v6, v2, v0
	v_fma_f32 v2, v0, v3, -v1
	v_cvt_f64_f32_e32 v[0:1], v6
	v_cvt_f64_f32_e32 v[2:3], v2
	v_mul_f64 v[0:1], v[0:1], s[0:1]
	v_mul_f64 v[2:3], v[2:3], s[0:1]
	v_cvt_f32_f64_e32 v0, v[0:1]
	v_cvt_f32_f64_e32 v1, v[2:3]
	v_add_co_u32 v2, vcc_lo, v4, s3
	v_add_co_ci_u32_e32 v3, vcc_lo, s2, v5, vcc_lo
	global_store_dwordx2 v[2:3], v[0:1], off
.LBB0_23:
	s_endpgm
	.section	.rodata,"a",@progbits
	.p2align	6, 0x0
	.amdhsa_kernel bluestein_single_back_len1530_dim1_sp_op_CI_CI
		.amdhsa_group_segment_fixed_size 12240
		.amdhsa_private_segment_fixed_size 0
		.amdhsa_kernarg_size 104
		.amdhsa_user_sgpr_count 6
		.amdhsa_user_sgpr_private_segment_buffer 1
		.amdhsa_user_sgpr_dispatch_ptr 0
		.amdhsa_user_sgpr_queue_ptr 0
		.amdhsa_user_sgpr_kernarg_segment_ptr 1
		.amdhsa_user_sgpr_dispatch_id 0
		.amdhsa_user_sgpr_flat_scratch_init 0
		.amdhsa_user_sgpr_private_segment_size 0
		.amdhsa_wavefront_size32 1
		.amdhsa_uses_dynamic_stack 0
		.amdhsa_system_sgpr_private_segment_wavefront_offset 0
		.amdhsa_system_sgpr_workgroup_id_x 1
		.amdhsa_system_sgpr_workgroup_id_y 0
		.amdhsa_system_sgpr_workgroup_id_z 0
		.amdhsa_system_sgpr_workgroup_info 0
		.amdhsa_system_vgpr_workitem_id 0
		.amdhsa_next_free_vgpr 255
		.amdhsa_next_free_sgpr 16
		.amdhsa_reserve_vcc 1
		.amdhsa_reserve_flat_scratch 0
		.amdhsa_float_round_mode_32 0
		.amdhsa_float_round_mode_16_64 0
		.amdhsa_float_denorm_mode_32 3
		.amdhsa_float_denorm_mode_16_64 3
		.amdhsa_dx10_clamp 1
		.amdhsa_ieee_mode 1
		.amdhsa_fp16_overflow 0
		.amdhsa_workgroup_processor_mode 1
		.amdhsa_memory_ordered 1
		.amdhsa_forward_progress 0
		.amdhsa_shared_vgpr_count 0
		.amdhsa_exception_fp_ieee_invalid_op 0
		.amdhsa_exception_fp_denorm_src 0
		.amdhsa_exception_fp_ieee_div_zero 0
		.amdhsa_exception_fp_ieee_overflow 0
		.amdhsa_exception_fp_ieee_underflow 0
		.amdhsa_exception_fp_ieee_inexact 0
		.amdhsa_exception_int_div_zero 0
	.end_amdhsa_kernel
	.text
.Lfunc_end0:
	.size	bluestein_single_back_len1530_dim1_sp_op_CI_CI, .Lfunc_end0-bluestein_single_back_len1530_dim1_sp_op_CI_CI
                                        ; -- End function
	.section	.AMDGPU.csdata,"",@progbits
; Kernel info:
; codeLenInByte = 22656
; NumSgprs: 18
; NumVgprs: 255
; ScratchSize: 0
; MemoryBound: 0
; FloatMode: 240
; IeeeMode: 1
; LDSByteSize: 12240 bytes/workgroup (compile time only)
; SGPRBlocks: 2
; VGPRBlocks: 31
; NumSGPRsForWavesPerEU: 18
; NumVGPRsForWavesPerEU: 255
; Occupancy: 4
; WaveLimiterHint : 1
; COMPUTE_PGM_RSRC2:SCRATCH_EN: 0
; COMPUTE_PGM_RSRC2:USER_SGPR: 6
; COMPUTE_PGM_RSRC2:TRAP_HANDLER: 0
; COMPUTE_PGM_RSRC2:TGID_X_EN: 1
; COMPUTE_PGM_RSRC2:TGID_Y_EN: 0
; COMPUTE_PGM_RSRC2:TGID_Z_EN: 0
; COMPUTE_PGM_RSRC2:TIDIG_COMP_CNT: 0
	.text
	.p2alignl 6, 3214868480
	.fill 48, 4, 3214868480
	.type	__hip_cuid_4ed696b85f40b64,@object ; @__hip_cuid_4ed696b85f40b64
	.section	.bss,"aw",@nobits
	.globl	__hip_cuid_4ed696b85f40b64
__hip_cuid_4ed696b85f40b64:
	.byte	0                               ; 0x0
	.size	__hip_cuid_4ed696b85f40b64, 1

	.ident	"AMD clang version 19.0.0git (https://github.com/RadeonOpenCompute/llvm-project roc-6.4.0 25133 c7fe45cf4b819c5991fe208aaa96edf142730f1d)"
	.section	".note.GNU-stack","",@progbits
	.addrsig
	.addrsig_sym __hip_cuid_4ed696b85f40b64
	.amdgpu_metadata
---
amdhsa.kernels:
  - .args:
      - .actual_access:  read_only
        .address_space:  global
        .offset:         0
        .size:           8
        .value_kind:     global_buffer
      - .actual_access:  read_only
        .address_space:  global
        .offset:         8
        .size:           8
        .value_kind:     global_buffer
      - .actual_access:  read_only
        .address_space:  global
        .offset:         16
        .size:           8
        .value_kind:     global_buffer
      - .actual_access:  read_only
        .address_space:  global
        .offset:         24
        .size:           8
        .value_kind:     global_buffer
      - .actual_access:  read_only
        .address_space:  global
        .offset:         32
        .size:           8
        .value_kind:     global_buffer
      - .offset:         40
        .size:           8
        .value_kind:     by_value
      - .address_space:  global
        .offset:         48
        .size:           8
        .value_kind:     global_buffer
      - .address_space:  global
        .offset:         56
        .size:           8
        .value_kind:     global_buffer
      - .address_space:  global
        .offset:         64
        .size:           8
        .value_kind:     global_buffer
      - .address_space:  global
        .offset:         72
        .size:           8
        .value_kind:     global_buffer
      - .offset:         80
        .size:           4
        .value_kind:     by_value
      - .address_space:  global
        .offset:         88
        .size:           8
        .value_kind:     global_buffer
      - .address_space:  global
        .offset:         96
        .size:           8
        .value_kind:     global_buffer
    .group_segment_fixed_size: 12240
    .kernarg_segment_align: 8
    .kernarg_segment_size: 104
    .language:       OpenCL C
    .language_version:
      - 2
      - 0
    .max_flat_workgroup_size: 102
    .name:           bluestein_single_back_len1530_dim1_sp_op_CI_CI
    .private_segment_fixed_size: 0
    .sgpr_count:     18
    .sgpr_spill_count: 0
    .symbol:         bluestein_single_back_len1530_dim1_sp_op_CI_CI.kd
    .uniform_work_group_size: 1
    .uses_dynamic_stack: false
    .vgpr_count:     255
    .vgpr_spill_count: 0
    .wavefront_size: 32
    .workgroup_processor_mode: 1
amdhsa.target:   amdgcn-amd-amdhsa--gfx1030
amdhsa.version:
  - 1
  - 2
...

	.end_amdgpu_metadata
